;; amdgpu-corpus repo=ROCm/rocFFT kind=compiled arch=gfx1030 opt=O3
	.text
	.amdgcn_target "amdgcn-amd-amdhsa--gfx1030"
	.amdhsa_code_object_version 6
	.protected	bluestein_single_fwd_len195_dim1_half_op_CI_CI ; -- Begin function bluestein_single_fwd_len195_dim1_half_op_CI_CI
	.globl	bluestein_single_fwd_len195_dim1_half_op_CI_CI
	.p2align	8
	.type	bluestein_single_fwd_len195_dim1_half_op_CI_CI,@function
bluestein_single_fwd_len195_dim1_half_op_CI_CI: ; @bluestein_single_fwd_len195_dim1_half_op_CI_CI
; %bb.0:
	s_load_dwordx4 s[8:11], s[4:5], 0x28
	v_mul_u32_u24_e32 v1, 0x13b2, v0
	v_mov_b32_e32 v11, 0
	s_mov_b32 s0, exec_lo
	v_lshrrev_b32_e32 v4, 16, v1
	v_lshl_add_u32 v10, s6, 2, v4
	s_waitcnt lgkmcnt(0)
	v_cmpx_gt_u64_e64 s[8:9], v[10:11]
	s_cbranch_execz .LBB0_15
; %bb.1:
	s_clause 0x1
	s_load_dwordx4 s[0:3], s[4:5], 0x18
	s_load_dwordx2 s[16:17], s[4:5], 0x0
	v_mul_lo_u16 v1, v4, 13
	v_sub_nc_u16 v8, v0, v1
	v_and_b32_e32 v62, 0xffff, v8
	v_lshlrev_b32_e32 v35, 2, v62
	v_or_b32_e32 v51, 28, v62
	v_or_b32_e32 v50, 58, v62
	s_waitcnt lgkmcnt(0)
	s_load_dwordx4 s[12:15], s[0:1], 0x0
	v_or_b32_e32 v49, 0x58, v62
	global_load_dword v65, v35, s[16:17]
	v_or_b32_e32 v48, 0x76, v62
	v_or_b32_e32 v47, 0x94, v62
	;; [unrolled: 1-line block ×3, first 2 shown]
	s_waitcnt lgkmcnt(0)
	v_mad_u64_u32 v[0:1], null, s14, v10, 0
	v_mad_u64_u32 v[2:3], null, s12, v62, 0
	s_mul_i32 s0, s13, 60
	s_mul_hi_u32 s1, s12, 60
	s_mul_i32 s6, s12, 60
	s_add_i32 s1, s1, s0
	v_mad_u64_u32 v[5:6], null, s15, v10, v[1:2]
	v_mad_u64_u32 v[6:7], null, s13, v62, v[3:4]
	v_and_b32_e32 v4, 3, v4
	v_mov_b32_e32 v1, v5
	v_mul_u32_u24_e32 v4, 0xc3, v4
	v_mov_b32_e32 v3, v6
	v_lshlrev_b64 v[0:1], 2, v[0:1]
	v_lshlrev_b32_e32 v66, 2, v4
	v_lshlrev_b64 v[5:6], 2, v[2:3]
	v_add_nc_u32_e32 v46, v66, v35
	v_add_co_u32 v2, vcc_lo, s10, v0
	v_add_co_ci_u32_e32 v3, vcc_lo, s11, v1, vcc_lo
	v_add_co_u32 v0, vcc_lo, v2, v5
	v_add_co_ci_u32_e32 v1, vcc_lo, v3, v6, vcc_lo
	;; [unrolled: 2-line block ×3, first 2 shown]
	s_clause 0x1
	global_load_dword v7, v[0:1], off
	global_load_dword v11, v[5:6], off
	v_add_co_u32 v0, vcc_lo, v5, s6
	v_add_co_ci_u32_e32 v1, vcc_lo, s1, v6, vcc_lo
	v_add_co_u32 v5, vcc_lo, v0, s6
	v_add_co_ci_u32_e32 v6, vcc_lo, s1, v1, vcc_lo
	s_clause 0x1
	global_load_dword v64, v35, s[16:17] offset:60
	global_load_dword v63, v35, s[16:17] offset:120
	s_clause 0x1
	global_load_dword v12, v[0:1], off
	global_load_dword v13, v[5:6], off
	v_add_co_u32 v0, vcc_lo, v5, s6
	v_add_co_ci_u32_e32 v1, vcc_lo, s1, v6, vcc_lo
	s_clause 0x2
	global_load_dword v61, v35, s[16:17] offset:180
	global_load_dword v60, v35, s[16:17] offset:240
	;; [unrolled: 1-line block ×3, first 2 shown]
	v_add_co_u32 v5, vcc_lo, v0, s6
	v_add_co_ci_u32_e32 v6, vcc_lo, s1, v1, vcc_lo
	global_load_dword v14, v[0:1], off
	v_add_co_u32 v0, vcc_lo, v5, s6
	v_add_co_ci_u32_e32 v1, vcc_lo, s1, v6, vcc_lo
	global_load_dword v15, v[5:6], off
	v_add_co_u32 v5, vcc_lo, v0, s6
	v_add_co_ci_u32_e32 v6, vcc_lo, s1, v1, vcc_lo
	s_clause 0x1
	global_load_dword v58, v35, s[16:17] offset:360
	global_load_dword v57, v35, s[16:17] offset:420
	global_load_dword v16, v[0:1], off
	global_load_dword v17, v[5:6], off
	v_add_co_u32 v0, vcc_lo, v5, s6
	v_add_co_ci_u32_e32 v1, vcc_lo, s1, v6, vcc_lo
	s_clause 0x1
	global_load_dword v56, v35, s[16:17] offset:480
	global_load_dword v55, v35, s[16:17] offset:540
	v_add_co_u32 v5, vcc_lo, v0, s6
	v_add_co_ci_u32_e32 v6, vcc_lo, s1, v1, vcc_lo
	global_load_dword v18, v[0:1], off
	v_add_co_u32 v0, vcc_lo, v5, s6
	v_add_co_ci_u32_e32 v1, vcc_lo, s1, v6, vcc_lo
	global_load_dword v19, v[5:6], off
	;; [unrolled: 3-line block ×3, first 2 shown]
	v_add_co_u32 v0, vcc_lo, v5, s6
	v_add_co_ci_u32_e32 v1, vcc_lo, s1, v6, vcc_lo
	global_load_dword v54, v35, s[16:17] offset:600
	global_load_dword v5, v[5:6], off
	global_load_dword v6, v[0:1], off
	s_clause 0x1
	global_load_dword v53, v35, s[16:17] offset:660
	global_load_dword v52, v35, s[16:17] offset:720
	s_load_dwordx2 s[6:7], s[4:5], 0x38
	s_load_dwordx4 s[8:11], s[2:3], 0x0
	v_cmp_gt_u16_e32 vcc_lo, 2, v8
	v_add_co_u32 v8, s0, s16, v35
	v_add_co_ci_u32_e64 v9, null, s17, 0, s0
	s_waitcnt vmcnt(24)
	v_lshrrev_b32_e32 v4, 16, v7
	v_mul_f16_sdwa v21, v65, v7 dst_sel:DWORD dst_unused:UNUSED_PAD src0_sel:WORD_1 src1_sel:DWORD
	s_waitcnt vmcnt(23)
	v_lshrrev_b32_e32 v23, 16, v11
	v_mul_f16_sdwa v22, v65, v4 dst_sel:DWORD dst_unused:UNUSED_PAD src0_sel:WORD_1 src1_sel:DWORD
	v_fma_f16 v4, v65, v4, -v21
	s_waitcnt vmcnt(22)
	v_mul_f16_sdwa v24, v64, v11 dst_sel:DWORD dst_unused:UNUSED_PAD src0_sel:WORD_1 src1_sel:DWORD
	v_fmac_f16_e32 v22, v65, v7
	v_mul_f16_sdwa v7, v64, v23 dst_sel:DWORD dst_unused:UNUSED_PAD src0_sel:WORD_1 src1_sel:DWORD
	s_waitcnt vmcnt(20)
	v_lshrrev_b32_e32 v21, 16, v12
	v_fma_f16 v23, v64, v23, -v24
	v_mul_f16_sdwa v24, v63, v12 dst_sel:DWORD dst_unused:UNUSED_PAD src0_sel:WORD_1 src1_sel:DWORD
	v_pack_b32_f16 v4, v22, v4
	v_fmac_f16_e32 v7, v64, v11
	v_mul_f16_sdwa v11, v63, v21 dst_sel:DWORD dst_unused:UNUSED_PAD src0_sel:WORD_1 src1_sel:DWORD
	s_waitcnt vmcnt(19)
	v_lshrrev_b32_e32 v22, 16, v13
	s_waitcnt vmcnt(18)
	v_mul_f16_sdwa v25, v61, v13 dst_sel:DWORD dst_unused:UNUSED_PAD src0_sel:WORD_1 src1_sel:DWORD
	v_fma_f16 v21, v63, v21, -v24
	v_pack_b32_f16 v7, v7, v23
	v_fmac_f16_e32 v11, v63, v12
	v_mul_f16_sdwa v12, v61, v22 dst_sel:DWORD dst_unused:UNUSED_PAD src0_sel:WORD_1 src1_sel:DWORD
	s_waitcnt vmcnt(15)
	v_lshrrev_b32_e32 v23, 16, v14
	v_fma_f16 v22, v61, v22, -v25
	v_mul_f16_sdwa v24, v60, v14 dst_sel:DWORD dst_unused:UNUSED_PAD src0_sel:WORD_1 src1_sel:DWORD
	ds_write2_b32 v46, v4, v7 offset1:15
	v_pack_b32_f16 v4, v11, v21
	v_fmac_f16_e32 v12, v61, v13
	v_mul_f16_sdwa v7, v60, v23 dst_sel:DWORD dst_unused:UNUSED_PAD src0_sel:WORD_1 src1_sel:DWORD
	s_waitcnt vmcnt(14)
	v_lshrrev_b32_e32 v11, 16, v15
	v_mul_f16_sdwa v13, v59, v15 dst_sel:DWORD dst_unused:UNUSED_PAD src0_sel:WORD_1 src1_sel:DWORD
	v_fma_f16 v21, v60, v23, -v24
	v_pack_b32_f16 v12, v12, v22
	v_fmac_f16_e32 v7, v60, v14
	v_mul_f16_sdwa v14, v59, v11 dst_sel:DWORD dst_unused:UNUSED_PAD src0_sel:WORD_1 src1_sel:DWORD
	v_fma_f16 v11, v59, v11, -v13
	s_waitcnt vmcnt(11)
	v_lshrrev_b32_e32 v13, 16, v16
	v_mul_f16_sdwa v22, v58, v16 dst_sel:DWORD dst_unused:UNUSED_PAD src0_sel:WORD_1 src1_sel:DWORD
	ds_write2_b32 v46, v4, v12 offset0:30 offset1:45
	v_pack_b32_f16 v4, v7, v21
	v_fmac_f16_e32 v14, v59, v15
	v_mul_f16_sdwa v7, v58, v13 dst_sel:DWORD dst_unused:UNUSED_PAD src0_sel:WORD_1 src1_sel:DWORD
	s_waitcnt vmcnt(10)
	v_lshrrev_b32_e32 v12, 16, v17
	v_mul_f16_sdwa v15, v57, v17 dst_sel:DWORD dst_unused:UNUSED_PAD src0_sel:WORD_1 src1_sel:DWORD
	v_fma_f16 v13, v58, v13, -v22
	v_pack_b32_f16 v11, v14, v11
	v_fmac_f16_e32 v7, v58, v16
	v_mul_f16_sdwa v14, v57, v12 dst_sel:DWORD dst_unused:UNUSED_PAD src0_sel:WORD_1 src1_sel:DWORD
	v_fma_f16 v12, v57, v12, -v15
	s_waitcnt vmcnt(7)
	v_lshrrev_b32_e32 v15, 16, v18
	v_mul_f16_sdwa v16, v56, v18 dst_sel:DWORD dst_unused:UNUSED_PAD src0_sel:WORD_1 src1_sel:DWORD
	ds_write2_b32 v46, v4, v11 offset0:60 offset1:75
	v_pack_b32_f16 v4, v7, v13
	v_fmac_f16_e32 v14, v57, v17
	s_waitcnt vmcnt(6)
	v_lshrrev_b32_e32 v7, 16, v19
	v_mul_f16_sdwa v11, v56, v15 dst_sel:DWORD dst_unused:UNUSED_PAD src0_sel:WORD_1 src1_sel:DWORD
	v_fma_f16 v13, v56, v15, -v16
	v_mul_f16_sdwa v15, v55, v19 dst_sel:DWORD dst_unused:UNUSED_PAD src0_sel:WORD_1 src1_sel:DWORD
	v_pack_b32_f16 v12, v14, v12
	v_mul_f16_sdwa v14, v55, v7 dst_sel:DWORD dst_unused:UNUSED_PAD src0_sel:WORD_1 src1_sel:DWORD
	s_waitcnt vmcnt(5)
	v_lshrrev_b32_e32 v16, 16, v20
	s_waitcnt vmcnt(3)
	v_lshrrev_b32_e32 v17, 16, v5
	v_fma_f16 v7, v55, v7, -v15
	v_mul_f16_sdwa v15, v54, v20 dst_sel:DWORD dst_unused:UNUSED_PAD src0_sel:WORD_1 src1_sel:DWORD
	v_fmac_f16_e32 v14, v55, v19
	s_waitcnt vmcnt(2)
	v_lshrrev_b32_e32 v19, 16, v6
	v_fmac_f16_e32 v11, v56, v18
	v_mul_f16_sdwa v18, v54, v16 dst_sel:DWORD dst_unused:UNUSED_PAD src0_sel:WORD_1 src1_sel:DWORD
	v_fma_f16 v15, v54, v16, -v15
	s_waitcnt vmcnt(1)
	v_mul_f16_sdwa v16, v53, v5 dst_sel:DWORD dst_unused:UNUSED_PAD src0_sel:WORD_1 src1_sel:DWORD
	v_mul_f16_sdwa v21, v53, v17 dst_sel:DWORD dst_unused:UNUSED_PAD src0_sel:WORD_1 src1_sel:DWORD
	s_waitcnt vmcnt(0)
	v_mul_f16_sdwa v22, v52, v6 dst_sel:DWORD dst_unused:UNUSED_PAD src0_sel:WORD_1 src1_sel:DWORD
	v_mul_f16_sdwa v23, v52, v19 dst_sel:DWORD dst_unused:UNUSED_PAD src0_sel:WORD_1 src1_sel:DWORD
	v_fmac_f16_e32 v18, v54, v20
	v_fma_f16 v16, v53, v17, -v16
	v_fmac_f16_e32 v21, v53, v5
	v_fma_f16 v5, v52, v19, -v22
	v_fmac_f16_e32 v23, v52, v6
	v_pack_b32_f16 v6, v11, v13
	v_pack_b32_f16 v7, v14, v7
	;; [unrolled: 1-line block ×5, first 2 shown]
	ds_write2_b32 v46, v4, v12 offset0:90 offset1:105
	ds_write2_b32 v46, v6, v7 offset0:120 offset1:135
	ds_write2_b32 v46, v11, v13 offset0:150 offset1:165
	ds_write_b32 v46, v5 offset:720
	s_and_saveexec_b32 s1, vcc_lo
	s_cbranch_execz .LBB0_3
; %bb.2:
	v_mad_u64_u32 v[4:5], null, s12, v51, 0
	v_mad_u64_u32 v[6:7], null, s12, v50, 0
	;; [unrolled: 1-line block ×3, first 2 shown]
	s_mul_i32 s0, s13, 0xfffffd64
	s_mul_i32 s2, s13, 0x78
	s_sub_i32 s0, s0, s12
	s_mul_hi_u32 s3, s12, 0x78
	v_mad_u64_u32 v[11:12], null, s13, v51, v[5:6]
	v_mad_u64_u32 v[12:13], null, s12, v49, 0
	;; [unrolled: 1-line block ×3, first 2 shown]
	v_add_nc_u32_e32 v1, s0, v1
	s_mul_i32 s14, s12, 0x78
	v_mov_b32_e32 v5, v11
	s_add_i32 s3, s3, s2
	v_mov_b32_e32 v11, v13
	global_load_dword v18, v[0:1], off
	v_mov_b32_e32 v7, v14
	v_lshlrev_b64 v[4:5], 2, v[4:5]
	v_mad_u64_u32 v[16:17], null, s12, v47, 0
	v_mad_u64_u32 v[13:14], null, s13, v49, v[11:12]
	;; [unrolled: 1-line block ×3, first 2 shown]
	v_add_co_u32 v4, s0, v2, v4
	v_add_co_ci_u32_e64 v5, s0, v3, v5, s0
	v_add_co_u32 v0, s0, v0, s14
	v_lshlrev_b64 v[6:7], 2, v[6:7]
	v_add_co_ci_u32_e64 v1, s0, s3, v1, s0
	global_load_dword v19, v[4:5], off
	global_load_dword v20, v[0:1], off
	v_add_co_u32 v4, s0, v2, v6
	v_mov_b32_e32 v6, v15
	v_add_co_ci_u32_e64 v5, s0, v3, v7, s0
	v_add_co_u32 v0, s0, v0, s14
	v_lshlrev_b64 v[11:12], 2, v[12:13]
	v_mad_u64_u32 v[6:7], null, s13, v48, v[6:7]
	v_add_co_ci_u32_e64 v1, s0, s3, v1, s0
	global_load_dword v21, v[4:5], off
	global_load_dword v22, v[0:1], off
	v_add_co_u32 v4, s0, v2, v11
	v_add_co_ci_u32_e64 v5, s0, v3, v12, s0
	v_mov_b32_e32 v15, v6
	v_mov_b32_e32 v6, v17
	v_mad_u64_u32 v[11:12], null, s12, v45, 0
	v_add_co_u32 v0, s0, v0, s14
	v_add_co_ci_u32_e64 v1, s0, s3, v1, s0
	v_mad_u64_u32 v[6:7], null, s13, v47, v[6:7]
	v_lshlrev_b64 v[13:14], 2, v[14:15]
	global_load_dword v15, v[4:5], off
	global_load_dword v23, v[0:1], off
	v_mov_b32_e32 v4, v12
	v_mov_b32_e32 v17, v6
	v_mad_u64_u32 v[4:5], null, s13, v45, v[4:5]
	v_add_co_u32 v12, s0, v2, v13
	v_lshlrev_b64 v[5:6], 2, v[16:17]
	v_add_co_ci_u32_e64 v13, s0, v3, v14, s0
	s_clause 0x6
	global_load_dword v14, v[8:9], off offset:52
	global_load_dword v24, v[8:9], off offset:112
	global_load_dword v25, v[8:9], off offset:172
	global_load_dword v26, v[8:9], off offset:232
	global_load_dword v27, v[8:9], off offset:292
	global_load_dword v28, v[8:9], off offset:352
	global_load_dword v29, v[8:9], off offset:412
	global_load_dword v13, v[12:13], off
	v_add_co_u32 v0, s0, v0, s14
	v_mov_b32_e32 v12, v4
	v_add_co_ci_u32_e64 v1, s0, s3, v1, s0
	v_add_co_u32 v4, s0, v2, v5
	v_add_co_ci_u32_e64 v5, s0, v3, v6, s0
	v_lshlrev_b64 v[6:7], 2, v[11:12]
	global_load_dword v16, v[8:9], off offset:472
	global_load_dword v11, v[0:1], off
	global_load_dword v12, v[8:9], off offset:532
	global_load_dword v4, v[4:5], off
	global_load_dword v5, v[8:9], off offset:592
	v_add_co_u32 v2, s0, v2, v6
	v_add_co_ci_u32_e64 v3, s0, v3, v7, s0
	v_add_co_u32 v0, s0, v0, s14
	v_add_co_ci_u32_e64 v1, s0, s3, v1, s0
	global_load_dword v2, v[2:3], off
	global_load_dword v3, v[8:9], off offset:712
	global_load_dword v6, v[0:1], off
	global_load_dword v7, v[8:9], off offset:652
	v_add_co_u32 v0, s0, v0, s14
	v_add_co_ci_u32_e64 v1, s0, s3, v1, s0
	global_load_dword v0, v[0:1], off
	global_load_dword v1, v[8:9], off offset:772
	s_waitcnt vmcnt(25)
	v_lshrrev_b32_e32 v17, 16, v18
	s_waitcnt vmcnt(23)
	v_lshrrev_b32_e32 v32, 16, v20
	;; [unrolled: 2-line block ×3, first 2 shown]
	s_waitcnt vmcnt(16)
	v_mul_f16_sdwa v33, v25, v20 dst_sel:DWORD dst_unused:UNUSED_PAD src0_sel:WORD_1 src1_sel:DWORD
	s_waitcnt vmcnt(15)
	v_mul_f16_sdwa v34, v26, v21 dst_sel:DWORD dst_unused:UNUSED_PAD src0_sel:WORD_1 src1_sel:DWORD
	s_waitcnt vmcnt(13)
	v_mul_f16_sdwa v37, v28, v15 dst_sel:DWORD dst_unused:UNUSED_PAD src0_sel:WORD_1 src1_sel:DWORD
	v_mul_f16_sdwa v30, v14, v18 dst_sel:DWORD dst_unused:UNUSED_PAD src0_sel:WORD_1 src1_sel:DWORD
	v_mul_f16_sdwa v31, v14, v17 dst_sel:DWORD dst_unused:UNUSED_PAD src0_sel:WORD_1 src1_sel:DWORD
	s_waitcnt vmcnt(11)
	v_lshrrev_b32_e32 v38, 16, v13
	v_fma_f16 v17, v14, v17, -v30
	v_fmac_f16_e32 v31, v14, v18
	v_mul_f16_sdwa v14, v25, v32 dst_sel:DWORD dst_unused:UNUSED_PAD src0_sel:WORD_1 src1_sel:DWORD
	v_lshrrev_b32_e32 v18, 16, v22
	v_fma_f16 v30, v25, v32, -v33
	v_mul_f16_sdwa v32, v27, v22 dst_sel:DWORD dst_unused:UNUSED_PAD src0_sel:WORD_1 src1_sel:DWORD
	v_pack_b32_f16 v17, v31, v17
	v_fmac_f16_e32 v14, v25, v20
	v_mul_f16_sdwa v20, v27, v18 dst_sel:DWORD dst_unused:UNUSED_PAD src0_sel:WORD_1 src1_sel:DWORD
	v_lshrrev_b32_e32 v25, 16, v23
	v_mul_f16_sdwa v31, v29, v23 dst_sel:DWORD dst_unused:UNUSED_PAD src0_sel:WORD_1 src1_sel:DWORD
	v_fma_f16 v18, v27, v18, -v32
	v_pack_b32_f16 v14, v14, v30
	v_fmac_f16_e32 v20, v27, v22
	v_mul_f16_sdwa v22, v29, v25 dst_sel:DWORD dst_unused:UNUSED_PAD src0_sel:WORD_1 src1_sel:DWORD
	s_waitcnt vmcnt(9)
	v_lshrrev_b32_e32 v27, 16, v11
	s_waitcnt vmcnt(8)
	v_mul_f16_sdwa v30, v12, v11 dst_sel:DWORD dst_unused:UNUSED_PAD src0_sel:WORD_1 src1_sel:DWORD
	v_fma_f16 v25, v29, v25, -v31
	v_lshrrev_b32_e32 v31, 16, v19
	v_mul_f16_sdwa v32, v24, v19 dst_sel:DWORD dst_unused:UNUSED_PAD src0_sel:WORD_1 src1_sel:DWORD
	v_lshrrev_b32_e32 v33, 16, v21
	v_mul_f16_sdwa v39, v16, v13 dst_sel:DWORD dst_unused:UNUSED_PAD src0_sel:WORD_1 src1_sel:DWORD
	s_waitcnt vmcnt(7)
	v_lshrrev_b32_e32 v40, 16, v4
	s_waitcnt vmcnt(6)
	v_mul_f16_sdwa v41, v5, v4 dst_sel:DWORD dst_unused:UNUSED_PAD src0_sel:WORD_1 src1_sel:DWORD
	s_waitcnt vmcnt(5)
	v_lshrrev_b32_e32 v42, 16, v2
	v_fmac_f16_e32 v22, v29, v23
	v_pack_b32_f16 v18, v20, v18
	v_mul_f16_sdwa v20, v12, v27 dst_sel:DWORD dst_unused:UNUSED_PAD src0_sel:WORD_1 src1_sel:DWORD
	v_fma_f16 v23, v12, v27, -v30
	s_waitcnt vmcnt(3)
	v_lshrrev_b32_e32 v27, 16, v6
	v_mul_f16_sdwa v43, v3, v2 dst_sel:DWORD dst_unused:UNUSED_PAD src0_sel:WORD_1 src1_sel:DWORD
	s_waitcnt vmcnt(2)
	v_mul_f16_sdwa v29, v7, v6 dst_sel:DWORD dst_unused:UNUSED_PAD src0_sel:WORD_1 src1_sel:DWORD
	v_mul_f16_sdwa v30, v24, v31 dst_sel:DWORD dst_unused:UNUSED_PAD src0_sel:WORD_1 src1_sel:DWORD
	v_fma_f16 v31, v24, v31, -v32
	v_mul_f16_sdwa v32, v26, v33 dst_sel:DWORD dst_unused:UNUSED_PAD src0_sel:WORD_1 src1_sel:DWORD
	v_fma_f16 v33, v26, v33, -v34
	;; [unrolled: 2-line block ×5, first 2 shown]
	v_mul_f16_sdwa v41, v3, v42 dst_sel:DWORD dst_unused:UNUSED_PAD src0_sel:WORD_1 src1_sel:DWORD
	v_pack_b32_f16 v22, v22, v25
	s_waitcnt vmcnt(1)
	v_lshrrev_b32_e32 v25, 16, v0
	v_fmac_f16_e32 v20, v12, v11
	v_mul_f16_sdwa v11, v7, v27 dst_sel:DWORD dst_unused:UNUSED_PAD src0_sel:WORD_1 src1_sel:DWORD
	v_fma_f16 v42, v3, v42, -v43
	v_fma_f16 v12, v7, v27, -v29
	s_waitcnt vmcnt(0)
	v_mul_f16_sdwa v27, v1, v0 dst_sel:DWORD dst_unused:UNUSED_PAD src0_sel:WORD_1 src1_sel:DWORD
	v_fmac_f16_e32 v41, v3, v2
	v_mul_f16_sdwa v3, v1, v25 dst_sel:DWORD dst_unused:UNUSED_PAD src0_sel:WORD_1 src1_sel:DWORD
	v_fmac_f16_e32 v30, v24, v19
	v_fmac_f16_e32 v34, v28, v15
	;; [unrolled: 1-line block ×6, first 2 shown]
	v_fma_f16 v4, v1, v25, -v27
	v_fmac_f16_e32 v3, v1, v0
	v_pack_b32_f16 v5, v30, v31
	v_pack_b32_f16 v7, v34, v36
	;; [unrolled: 1-line block ×9, first 2 shown]
	ds_write2_b32 v46, v17, v5 offset0:13 offset1:28
	ds_write2_b32 v46, v14, v6 offset0:43 offset1:58
	;; [unrolled: 1-line block ×6, first 2 shown]
	ds_write_b32 v46, v3 offset:772
.LBB0_3:
	s_or_b32 exec_lo, exec_lo, s1
	s_waitcnt lgkmcnt(0)
	s_barrier
	buffer_gl0_inv
	ds_read2_b32 v[23:24], v46 offset1:15
	ds_read2_b32 v[33:34], v46 offset0:30 offset1:45
	ds_read2_b32 v[29:30], v46 offset0:60 offset1:75
	;; [unrolled: 1-line block ×5, first 2 shown]
	ds_read_b32 v81, v46 offset:720
	s_load_dwordx2 s[2:3], s[4:5], 0x8
	v_mov_b32_e32 v0, 0
                                        ; implicit-def: $vgpr7
                                        ; implicit-def: $vgpr2
                                        ; implicit-def: $vgpr20
                                        ; implicit-def: $vgpr4
                                        ; implicit-def: $vgpr22
                                        ; implicit-def: $vgpr36
	s_and_saveexec_b32 s0, vcc_lo
	s_cbranch_execz .LBB0_5
; %bb.4:
	ds_read2_b32 v[0:1], v46 offset0:13 offset1:28
	ds_read2_b32 v[21:22], v46 offset0:43 offset1:58
	;; [unrolled: 1-line block ×6, first 2 shown]
	ds_read_b32 v36, v46 offset:772
.LBB0_5:
	s_or_b32 exec_lo, exec_lo, s0
	s_waitcnt lgkmcnt(0)
	v_pk_add_f16 v68, v1, v36 neg_lo:[0,1] neg_hi:[0,1]
	v_mov_b32_e32 v43, 0xba95
	v_mov_b32_e32 v44, 0xbbf1
	v_pk_add_f16 v37, v36, v1
	v_mov_b32_e32 v40, 0xbb7b
	v_mov_b32_e32 v42, 0xb94e
	v_mul_f16_sdwa v11, v68, v43 dst_sel:DWORD dst_unused:UNUSED_PAD src0_sel:WORD_1 src1_sel:DWORD
	v_mul_f16_sdwa v13, v68, v44 dst_sel:DWORD dst_unused:UNUSED_PAD src0_sel:WORD_1 src1_sel:DWORD
	v_pk_add_f16 v69, v21, v5 neg_lo:[0,1] neg_hi:[0,1]
	v_mov_b32_e32 v80, 0xb3a8
	v_pk_add_f16 v12, v23, v24
	v_mul_f16_sdwa v14, v68, v40 dst_sel:DWORD dst_unused:UNUSED_PAD src0_sel:WORD_1 src1_sel:DWORD
	v_fma_f16 v15, v37, 0x388b, -v11
	v_fmac_f16_e32 v11, 0x388b, v37
	v_fma_f16 v16, v37, 0x2fb7, -v13
	v_fmac_f16_e32 v13, 0x2fb7, v37
	v_mul_f16_sdwa v18, v68, v42 dst_sel:DWORD dst_unused:UNUSED_PAD src0_sel:WORD_1 src1_sel:DWORD
	v_pk_add_f16 v38, v5, v21
	v_mul_f16_sdwa v73, v69, v40 dst_sel:DWORD dst_unused:UNUSED_PAD src0_sel:WORD_1 src1_sel:DWORD
	v_mov_b32_e32 v86, 0x394e
	v_mul_f16_sdwa v75, v69, v80 dst_sel:DWORD dst_unused:UNUSED_PAD src0_sel:WORD_1 src1_sel:DWORD
	v_mov_b32_e32 v84, 0x3bf1
	v_pk_add_f16 v70, v22, v4 neg_lo:[0,1] neg_hi:[0,1]
	v_mov_b32_e32 v85, 0x3b7b
	v_fma_f16 v17, v37, 0xb5ac, -v14
	v_fmac_f16_e32 v14, 0xb5ac, v37
	v_fma_f16 v74, v37, 0xb9fd, -v18
	v_fmac_f16_e32 v18, 0xb9fd, v37
	v_fma_f16 v76, v38, 0xb5ac, -v73
	v_mul_f16_sdwa v77, v69, v86 dst_sel:DWORD dst_unused:UNUSED_PAD src0_sel:WORD_1 src1_sel:DWORD
	v_fmac_f16_e32 v73, 0xb5ac, v38
	v_fma_f16 v78, v38, 0xbbc4, -v75
	v_fmac_f16_e32 v75, 0xbbc4, v38
	v_mul_f16_sdwa v83, v69, v84 dst_sel:DWORD dst_unused:UNUSED_PAD src0_sel:WORD_1 src1_sel:DWORD
	v_pk_add_f16 v39, v4, v22
	v_mul_f16_sdwa v88, v70, v80 dst_sel:DWORD dst_unused:UNUSED_PAD src0_sel:WORD_1 src1_sel:DWORD
	v_mov_b32_e32 v67, 0x3770
	v_mul_f16_sdwa v90, v70, v85 dst_sel:DWORD dst_unused:UNUSED_PAD src0_sel:WORD_1 src1_sel:DWORD
	v_pk_add_f16 v71, v19, v3 neg_lo:[0,1] neg_hi:[0,1]
	v_add_f16_e32 v15, v15, v0
	v_add_f16_e32 v11, v11, v0
	;; [unrolled: 1-line block ×4, first 2 shown]
	v_pk_add_f16 v12, v12, v33
	v_fma_f16 v79, v38, 0xb9fd, -v77
	v_fmac_f16_e32 v77, 0xb9fd, v38
	v_fma_f16 v89, v38, 0x2fb7, -v83
	v_fmac_f16_e32 v83, 0x2fb7, v38
	;; [unrolled: 2-line block ×3, first 2 shown]
	v_mul_f16_sdwa v92, v70, v67 dst_sel:DWORD dst_unused:UNUSED_PAD src0_sel:WORD_1 src1_sel:DWORD
	v_fma_f16 v93, v39, 0xb5ac, -v90
	v_fmac_f16_e32 v90, 0xb5ac, v39
	v_mul_f16_sdwa v94, v70, v43 dst_sel:DWORD dst_unused:UNUSED_PAD src0_sel:WORD_1 src1_sel:DWORD
	v_pk_add_f16 v41, v3, v19
	v_mul_f16_sdwa v96, v71, v86 dst_sel:DWORD dst_unused:UNUSED_PAD src0_sel:WORD_1 src1_sel:DWORD
	v_mul_f16_sdwa v98, v71, v67 dst_sel:DWORD dst_unused:UNUSED_PAD src0_sel:WORD_1 src1_sel:DWORD
	v_add_f16_e32 v15, v76, v15
	v_add_f16_e32 v11, v73, v11
	;; [unrolled: 1-line block ×5, first 2 shown]
	v_pk_add_f16 v73, v20, v2 neg_lo:[0,1] neg_hi:[0,1]
	v_add_f16_e32 v14, v14, v0
	v_add_f16_e32 v74, v74, v0
	;; [unrolled: 1-line block ×3, first 2 shown]
	v_pk_add_f16 v12, v12, v34
	v_fma_f16 v95, v39, 0x3b15, -v92
	v_fmac_f16_e32 v92, 0x3b15, v39
	v_fma_f16 v97, v39, 0x388b, -v94
	v_fmac_f16_e32 v94, 0x388b, v39
	;; [unrolled: 2-line block ×4, first 2 shown]
	v_mul_f16_sdwa v101, v71, v44 dst_sel:DWORD dst_unused:UNUSED_PAD src0_sel:WORD_1 src1_sel:DWORD
	v_mov_b32_e32 v87, 0x33a8
	v_add_f16_e32 v17, v79, v17
	v_pk_add_f16 v82, v2, v20
	v_add_f16_e32 v14, v77, v14
	v_mul_f16_sdwa v75, v73, v84 dst_sel:DWORD dst_unused:UNUSED_PAD src0_sel:WORD_1 src1_sel:DWORD
	v_add_f16_e32 v74, v89, v74
	v_add_f16_e32 v18, v83, v18
	;; [unrolled: 1-line block ×3, first 2 shown]
	v_mul_f16_sdwa v89, v73, v43 dst_sel:DWORD dst_unused:UNUSED_PAD src0_sel:WORD_1 src1_sel:DWORD
	v_add_f16_e32 v11, v88, v11
	v_add_f16_e32 v16, v93, v16
	;; [unrolled: 1-line block ×3, first 2 shown]
	v_pk_add_f16 v76, v6, v7 neg_lo:[0,1] neg_hi:[0,1]
	v_pk_add_f16 v12, v12, v29
	v_fma_f16 v102, v41, 0x2fb7, -v101
	v_fmac_f16_e32 v101, 0x2fb7, v41
	v_mul_f16_sdwa v78, v71, v87 dst_sel:DWORD dst_unused:UNUSED_PAD src0_sel:WORD_1 src1_sel:DWORD
	v_fma_f16 v79, v82, 0x2fb7, -v75
	v_fmac_f16_e32 v75, 0x2fb7, v82
	v_mul_f16_sdwa v91, v73, v87 dst_sel:DWORD dst_unused:UNUSED_PAD src0_sel:WORD_1 src1_sel:DWORD
	v_fma_f16 v93, v82, 0x388b, -v89
	v_fmac_f16_e32 v89, 0x388b, v82
	v_add_f16_e32 v17, v95, v17
	v_add_f16_e32 v14, v92, v14
	;; [unrolled: 1-line block ×3, first 2 shown]
	v_pk_add_f16 v83, v7, v6
	v_add_f16_e32 v18, v94, v18
	v_mul_f16_sdwa v94, v76, v67 dst_sel:DWORD dst_unused:UNUSED_PAD src0_sel:WORD_1 src1_sel:DWORD
	v_add_f16_e32 v15, v99, v15
	v_add_f16_e32 v11, v96, v11
	;; [unrolled: 1-line block ×3, first 2 shown]
	v_mul_f16_sdwa v97, v76, v42 dst_sel:DWORD dst_unused:UNUSED_PAD src0_sel:WORD_1 src1_sel:DWORD
	v_add_f16_e32 v13, v98, v13
	v_mov_b32_e32 v88, 0x3a95
	v_pk_add_f16 v12, v12, v30
	v_mov_b32_e32 v72, 0xb770
	v_fma_f16 v77, v41, 0xbbc4, -v78
	v_fmac_f16_e32 v78, 0xbbc4, v41
	v_fma_f16 v90, v82, 0xbbc4, -v91
	v_fmac_f16_e32 v91, 0xbbc4, v82
	v_mul_f16_sdwa v92, v73, v67 dst_sel:DWORD dst_unused:UNUSED_PAD src0_sel:WORD_1 src1_sel:DWORD
	v_fma_f16 v96, v83, 0x3b15, -v94
	v_fmac_f16_e32 v94, 0x3b15, v83
	v_add_f16_e32 v17, v102, v17
	v_fma_f16 v98, v83, 0xb9fd, -v97
	v_fmac_f16_e32 v97, 0xb9fd, v83
	v_add_f16_e32 v14, v101, v14
	v_mul_f16_sdwa v99, v76, v88 dst_sel:DWORD dst_unused:UNUSED_PAD src0_sel:WORD_1 src1_sel:DWORD
	v_add_f16_e32 v15, v79, v15
	v_add_f16_e32 v11, v75, v11
	;; [unrolled: 1-line block ×4, first 2 shown]
	v_pk_add_f16 v12, v12, v27
	v_pk_add_f16 v109, v81, v24
	v_pk_add_f16 v116, v24, v81 neg_lo:[0,1] neg_hi:[0,1]
	v_fma_f16 v95, v82, 0x3b15, -v92
	v_add_f16_e32 v74, v77, v74
	v_mul_f16_sdwa v77, v76, v40 dst_sel:DWORD dst_unused:UNUSED_PAD src0_sel:WORD_1 src1_sel:DWORD
	v_add_f16_e32 v18, v78, v18
	v_fma_f16 v78, v83, 0x388b, -v99
	v_fmac_f16_e32 v99, 0x388b, v83
	v_add_f16_e32 v17, v90, v17
	v_add_f16_e32 v89, v91, v14
	v_add_f16_e32 v13, v96, v15
	v_pk_add_f16 v15, v12, v28
	v_add_f16_e32 v12, v94, v11
	v_add_f16_e32 v14, v98, v16
	v_pk_mul_f16 v16, 0x3b15388b, v109
	v_add_f16_e32 v11, v97, v75
	v_mul_f16_sdwa v75, v116, v72 dst_sel:DWORD dst_unused:UNUSED_PAD src0_sel:WORD_1 src1_sel:DWORD
	v_fmac_f16_e32 v92, 0x3b15, v82
	v_fma_f16 v79, v83, 0xb5ac, -v77
	v_add_f16_e32 v74, v95, v74
	v_add_f16_e32 v17, v78, v17
	v_pk_fma_f16 v78, 0xba95b770, v116, v16 op_sel:[0,0,1] op_sel_hi:[1,1,0] neg_lo:[0,1,0] neg_hi:[0,1,0]
	v_pk_fma_f16 v117, 0xba95b770, v116, v16 op_sel:[0,0,1] op_sel_hi:[1,1,0]
	v_add_f16_e32 v16, v99, v89
	v_fma_f16 v24, v109, 0x3b15, -v75
	v_pk_add_f16 v89, v26, v33
	v_add_f16_e32 v108, v92, v18
	v_add_f16_e32 v18, v79, v74
	v_pk_add_f16 v15, v15, v31
	v_add_f16_e32 v74, v23, v24
	v_pk_add_f16 v24, v33, v26 neg_lo:[0,1] neg_hi:[0,1]
	v_pk_mul_f16 v33, 0x388bb5ac, v89
	v_bfi_b32 v90, 0xffff, v117, v78
	v_lshrrev_b32_e32 v118, 16, v109
	v_mul_f16_e32 v119, 0xba95, v116
	v_mul_f16_sdwa v98, v24, v43 dst_sel:DWORD dst_unused:UNUSED_PAD src0_sel:WORD_1 src1_sel:DWORD
	v_pk_fma_f16 v91, 0xbb7bba95, v24, v33 op_sel:[0,0,1] op_sel_hi:[1,1,0] neg_lo:[0,1,0] neg_hi:[0,1,0]
	v_pk_fma_f16 v97, 0xbb7bba95, v24, v33 op_sel:[0,0,1] op_sel_hi:[1,1,0]
	v_pk_add_f16 v15, v15, v32
	v_pk_add_f16 v79, v23, v90 op_sel:[1,0] op_sel_hi:[0,1]
	v_pk_add_f16 v90, v25, v34
	v_pk_add_f16 v33, v34, v25 neg_lo:[0,1] neg_hi:[0,1]
	v_pk_add_f16 v34, v32, v29
	v_pk_add_f16 v29, v29, v32 neg_lo:[0,1] neg_hi:[0,1]
	;; [unrolled: 2-line block ×3, first 2 shown]
	v_fma_f16 v31, v89, 0x388b, -v98
	v_bfi_b32 v92, 0xffff, v97, v91
	v_fmamk_f16 v93, v118, 0x388b, v119
	v_lshrrev_b32_e32 v113, 16, v89
	v_mul_f16_e32 v121, 0xbb7b, v24
	v_add_f16_e32 v31, v31, v74
	v_pk_mul_f16 v74, 0x2fb7bbc4, v90
	v_pk_add_f16 v79, v92, v79
	v_add_f16_sdwa v92, v23, v93 dst_sel:DWORD dst_unused:UNUSED_PAD src0_sel:WORD_1 src1_sel:DWORD
	v_fmamk_f16 v94, v113, 0xb5ac, v121
	v_mul_f16_sdwa v114, v33, v44 dst_sel:DWORD dst_unused:UNUSED_PAD src0_sel:WORD_1 src1_sel:DWORD
	v_pk_fma_f16 v93, 0xb3a8bbf1, v33, v74 op_sel:[0,0,1] op_sel_hi:[1,1,0] neg_lo:[0,1,0] neg_hi:[0,1,0]
	v_pk_fma_f16 v112, 0xb3a8bbf1, v33, v74 op_sel:[0,0,1] op_sel_hi:[1,1,0]
	v_lshrrev_b32_e32 v107, 16, v90
	v_mul_f16_e32 v115, 0xb3a8, v33
	v_add_f16_e32 v74, v94, v92
	v_pk_mul_f16 v92, 0xb5acb9fd, v34
	v_fma_f16 v95, v90, 0x2fb7, -v114
	v_mul_f16_sdwa v106, v29, v40 dst_sel:DWORD dst_unused:UNUSED_PAD src0_sel:WORD_1 src1_sel:DWORD
	v_bfi_b32 v96, 0xffff, v112, v93
	v_fmamk_f16 v99, v107, 0xbbc4, v115
	v_pk_fma_f16 v94, 0x394ebb7b, v29, v92 op_sel:[0,0,1] op_sel_hi:[1,1,0] neg_lo:[0,1,0] neg_hi:[0,1,0]
	v_pk_fma_f16 v105, 0x394ebb7b, v29, v92 op_sel:[0,0,1] op_sel_hi:[1,1,0]
	v_add_f16_e32 v31, v95, v31
	v_fma_f16 v92, v34, 0xb5ac, -v106
	v_pk_add_f16 v79, v96, v79
	v_add_f16_e32 v74, v99, v74
	v_bfi_b32 v95, 0xffff, v105, v94
	v_lshrrev_b32_e32 v102, 16, v34
	v_mul_f16_e32 v110, 0x394e, v29
	v_mul_f16_sdwa v99, v30, v42 dst_sel:DWORD dst_unused:UNUSED_PAD src0_sel:WORD_1 src1_sel:DWORD
	v_pk_mul_f16 v100, 0xb9fd2fb7, v32
	v_add_f16_e32 v101, v92, v31
	v_pk_add_f16 v92, v28, v27
	v_pk_add_f16 v79, v95, v79
	v_fmamk_f16 v95, v102, 0xb9fd, v110
	v_fma_f16 v103, v32, 0xb9fd, -v99
	v_pk_fma_f16 v96, 0x3bf1b94e, v30, v100 op_sel:[0,0,1] op_sel_hi:[1,1,0] neg_lo:[0,1,0] neg_hi:[0,1,0]
	v_pk_fma_f16 v31, 0x3bf1b94e, v30, v100 op_sel:[0,0,1] op_sel_hi:[1,1,0]
	v_lshrrev_b32_e32 v100, 16, v32
	v_mul_f16_e32 v111, 0x3bf1, v30
	v_pk_add_f16 v27, v27, v28 neg_lo:[0,1] neg_hi:[0,1]
	v_pk_mul_f16 v28, 0xbbc43b15, v92
	v_add_f16_e32 v74, v95, v74
	v_add_f16_e32 v120, v103, v101
	v_bfi_b32 v122, 0xffff, v31, v96
	v_fmamk_f16 v123, v100, 0x2fb7, v111
	v_pk_fma_f16 v101, 0x3770b3a8, v27, v28 op_sel:[0,0,1] op_sel_hi:[1,1,0] neg_lo:[0,1,0] neg_hi:[0,1,0]
	v_pk_fma_f16 v124, 0x3770b3a8, v27, v28 op_sel:[0,0,1] op_sel_hi:[1,1,0]
	v_lshrrev_b32_e32 v95, 16, v92
	v_mul_f16_e32 v103, 0x3770, v27
	v_mul_f16_sdwa v104, v27, v80 dst_sel:DWORD dst_unused:UNUSED_PAD src0_sel:WORD_1 src1_sel:DWORD
	v_pk_add_f16 v79, v122, v79
	v_add_f16_e32 v74, v123, v74
	v_bfi_b32 v122, 0xffff, v124, v101
	v_fmamk_f16 v123, v95, 0x3b15, v103
	v_fma_f16 v124, v92, 0xbbc4, -v104
	v_mul_lo_u16 v125, v62, 13
	v_pk_add_f16 v25, v15, v25
	v_pk_add_f16 v79, v122, v79
	v_add_f16_e32 v74, v123, v74
	v_add_f16_e32 v120, v124, v120
	v_and_b32_e32 v122, 0xffff, v125
	v_fmac_f16_e32 v77, 0xb5ac, v83
	v_pk_add_f16 v132, v25, v26
	v_alignbit_b32 v25, v74, v79, 16
	v_pack_b32_f16 v26, v120, v79
	v_lshl_add_u32 v74, v122, 2, v66
	v_add_f16_e32 v15, v77, v108
	s_barrier
	v_mul_f16_e32 v77, 0xbbf1, v116
	buffer_gl0_inv
	ds_write2_b32 v74, v26, v25 offset0:1 offset1:2
	v_mul_f16_e32 v25, 0xbb7b, v116
	v_mul_f16_e32 v108, 0xb94e, v116
	v_fma_f16 v26, v118, 0x388b, -v119
	v_fmamk_f16 v79, v118, 0x2fb7, v77
	v_fma_f16 v77, v118, 0x2fb7, -v77
	v_fmamk_f16 v119, v118, 0xb5ac, v25
	v_fma_f16 v25, v118, 0xb5ac, -v25
	v_mul_f16_sdwa v120, v116, v44 dst_sel:DWORD dst_unused:UNUSED_PAD src0_sel:WORD_1 src1_sel:DWORD
	v_fmamk_f16 v122, v118, 0xb9fd, v108
	v_fma_f16 v108, v118, 0xb9fd, -v108
	v_mul_f16_sdwa v118, v116, v40 dst_sel:DWORD dst_unused:UNUSED_PAD src0_sel:WORD_1 src1_sel:DWORD
	v_mul_f16_sdwa v124, v116, v42 dst_sel:DWORD dst_unused:UNUSED_PAD src0_sel:WORD_1 src1_sel:DWORD
	v_pk_mul_f16 v125, 0xbbc4, v109 op_sel_hi:[0,1]
	v_fmac_f16_e32 v75, 0x3b15, v109
	v_fma_f16 v123, v109, 0x2fb7, -v120
	v_fmac_f16_e32 v120, 0x2fb7, v109
	v_fma_f16 v126, v109, 0xb5ac, -v118
	;; [unrolled: 2-line block ×3, first 2 shown]
	v_fmac_f16_e32 v124, 0xb9fd, v109
	v_pk_fma_f16 v109, 0xb3a8, v116, v125 op_sel:[0,0,1] op_sel_hi:[0,1,0] neg_lo:[0,1,0] neg_hi:[0,1,0]
	v_pk_fma_f16 v116, 0xb3a8, v116, v125 op_sel:[0,0,1] op_sel_hi:[0,1,0]
	v_add_f16_sdwa v135, v23, v26 dst_sel:DWORD dst_unused:UNUSED_PAD src0_sel:WORD_1 src1_sel:DWORD
	v_add_f16_sdwa v143, v23, v25 dst_sel:DWORD dst_unused:UNUSED_PAD src0_sel:WORD_1 src1_sel:DWORD
	v_lshrrev_b32_e32 v26, 16, v37
	v_mul_f16_e32 v25, 0xba95, v68
	v_add_f16_e32 v133, v23, v75
	v_pk_add_f16 v134, v23, v117 op_sel:[1,0] op_sel_hi:[0,1]
	v_add_f16_e32 v136, v23, v123
	v_add_f16_sdwa v137, v23, v79 dst_sel:DWORD dst_unused:UNUSED_PAD src0_sel:WORD_1 src1_sel:DWORD
	v_add_f16_e32 v138, v23, v120
	v_add_f16_sdwa v139, v23, v77 dst_sel:DWORD dst_unused:UNUSED_PAD src0_sel:WORD_1 src1_sel:DWORD
	;; [unrolled: 2-line block ×3, first 2 shown]
	v_add_f16_e32 v142, v23, v118
	v_add_f16_e32 v144, v23, v127
	v_add_f16_sdwa v145, v23, v122 dst_sel:DWORD dst_unused:UNUSED_PAD src0_sel:WORD_1 src1_sel:DWORD
	v_add_f16_e32 v146, v23, v124
	v_add_f16_sdwa v147, v23, v108 dst_sel:DWORD dst_unused:UNUSED_PAD src0_sel:WORD_1 src1_sel:DWORD
	v_add_f16_sdwa v124, v23, v78 dst_sel:DWORD dst_unused:UNUSED_PAD src0_sel:WORD_1 src1_sel:DWORD
	v_pk_add_f16 v117, v23, v109 op_sel:[1,0] op_sel_hi:[0,1]
	v_pk_add_f16 v119, v23, v116 op_sel:[1,0] op_sel_hi:[0,1]
	v_fmamk_f16 v77, v26, 0x388b, v25
	v_fma_f16 v78, v26, 0x388b, -v25
	v_mul_f16_e32 v25, 0xbb7b, v68
	v_mul_f16_sdwa v23, v68, v72 dst_sel:DWORD dst_unused:UNUSED_PAD src0_sel:WORD_1 src1_sel:DWORD
	v_mul_f16_e32 v75, 0xbbf1, v68
	v_mul_f16_e32 v120, 0xb3a8, v68
	v_lshrrev_b32_e32 v126, 16, v38
	v_fmamk_f16 v108, v26, 0xb5ac, v25
	v_fma_f16 v109, v26, 0xb5ac, -v25
	v_fmamk_f16 v116, v37, 0x3b15, v23
	v_mul_f16_sdwa v25, v69, v43 dst_sel:DWORD dst_unused:UNUSED_PAD src0_sel:WORD_1 src1_sel:DWORD
	v_fmamk_f16 v79, v26, 0x2fb7, v75
	v_fma_f16 v72, v26, 0x2fb7, -v75
	v_mul_f16_e32 v75, 0xb94e, v68
	v_add_f16_e32 v116, v116, v0
	v_fmamk_f16 v122, v38, 0x388b, v25
	v_mul_f16_e32 v123, 0xbb7b, v69
	v_mul_f16_e32 v125, 0x394e, v69
	v_fmamk_f16 v118, v26, 0xb9fd, v75
	v_fma_f16 v75, v26, 0xb9fd, -v75
	v_add_f16_e32 v116, v122, v116
	v_mul_f16_e32 v122, 0xb3a8, v69
	v_fmamk_f16 v127, v26, 0xbbc4, v120
	v_fma_f16 v120, v26, 0xbbc4, -v120
	v_add_f16_sdwa v26, v77, v0 dst_sel:DWORD dst_unused:UNUSED_PAD src0_sel:DWORD src1_sel:WORD_1
	v_fmamk_f16 v77, v126, 0xb5ac, v123
	v_fmamk_f16 v128, v126, 0xbbc4, v122
	v_fma_f16 v122, v126, 0xbbc4, -v122
	v_add_f16_sdwa v72, v72, v0 dst_sel:DWORD dst_unused:UNUSED_PAD src0_sel:DWORD src1_sel:WORD_1
	v_add_f16_sdwa v108, v108, v0 dst_sel:DWORD dst_unused:UNUSED_PAD src0_sel:DWORD src1_sel:WORD_1
	v_fmamk_f16 v129, v126, 0xb9fd, v125
	v_fma_f16 v123, v126, 0xb5ac, -v123
	v_add_f16_sdwa v78, v78, v0 dst_sel:DWORD dst_unused:UNUSED_PAD src0_sel:DWORD src1_sel:WORD_1
	v_add_f16_sdwa v79, v79, v0 dst_sel:DWORD dst_unused:UNUSED_PAD src0_sel:DWORD src1_sel:WORD_1
	v_add_f16_e32 v77, v77, v26
	v_add_f16_e32 v72, v122, v72
	;; [unrolled: 1-line block ×3, first 2 shown]
	v_mul_f16_e32 v108, 0x3bf1, v69
	v_pk_mul_f16 v26, 0xb3a8b770, v68
	v_add_f16_e32 v78, v123, v78
	v_add_f16_e32 v79, v128, v79
	v_fma_f16 v123, v126, 0xb9fd, -v125
	v_add_f16_sdwa v125, v109, v0 dst_sel:DWORD dst_unused:UNUSED_PAD src0_sel:DWORD src1_sel:WORD_1
	v_add_f16_sdwa v68, v118, v0 dst_sel:DWORD dst_unused:UNUSED_PAD src0_sel:DWORD src1_sel:WORD_1
	v_fmamk_f16 v118, v126, 0x2fb7, v108
	v_fma_f16 v108, v126, 0x2fb7, -v108
	v_add_f16_sdwa v75, v75, v0 dst_sel:DWORD dst_unused:UNUSED_PAD src0_sel:DWORD src1_sel:WORD_1
	v_pk_fma_f16 v128, 0x3b15bbc4, v37, v26 op_sel:[0,0,1] op_sel_hi:[1,1,0] neg_lo:[0,0,1] neg_hi:[0,0,1]
	v_pk_mul_f16 v109, 0x3770ba95, v69
	v_add_f16_e32 v123, v123, v125
	v_add_f16_e32 v68, v118, v68
	;; [unrolled: 1-line block ×3, first 2 shown]
	v_pk_add_f16 v118, v128, v0
	v_pk_fma_f16 v125, 0x388b3b15, v38, v109 op_sel:[0,0,1] op_sel_hi:[1,1,0] neg_lo:[0,0,1] neg_hi:[0,0,1]
	v_mul_f16_e32 v128, 0x3770, v69
	v_mul_f16_sdwa v108, v70, v44 dst_sel:DWORD dst_unused:UNUSED_PAD src0_sel:WORD_1 src1_sel:DWORD
	v_lshrrev_b32_e32 v129, 16, v39
	v_mul_f16_e32 v69, 0xb3a8, v70
	v_add_f16_sdwa v120, v120, v0 dst_sel:DWORD dst_unused:UNUSED_PAD src0_sel:DWORD src1_sel:WORD_1
	v_fma_f16 v130, v126, 0x3b15, -v128
	v_pk_add_f16 v125, v125, v118
	v_fmamk_f16 v118, v39, 0x2fb7, v108
	v_fmamk_f16 v131, v129, 0xbbc4, v69
	v_mul_f16_e32 v148, 0x3b7b, v70
	v_fma_f16 v69, v129, 0xbbc4, -v69
	v_add_f16_e32 v120, v130, v120
	v_add_f16_e32 v130, v118, v116
	v_mul_f16_e32 v118, 0x3770, v70
	v_fmamk_f16 v116, v129, 0xb5ac, v148
	v_add_f16_e32 v69, v69, v78
	v_mul_f16_e32 v78, 0xba95, v70
	v_add_f16_e32 v77, v131, v77
	v_fma_f16 v131, v129, 0xb5ac, -v148
	v_add_f16_e32 v79, v116, v79
	v_fmamk_f16 v116, v129, 0x3b15, v118
	v_fma_f16 v148, v129, 0x3b15, -v118
	v_fmamk_f16 v149, v129, 0x388b, v78
	v_pk_mul_f16 v118, 0xb94ebbf1, v70
	v_add_f16_e32 v72, v131, v72
	v_add_f16_e32 v131, v116, v122
	v_add_f16_e32 v123, v148, v123
	v_add_f16_e32 v68, v149, v68
	v_fma_f16 v78, v129, 0x388b, -v78
	v_pk_fma_f16 v122, 0x2fb7b9fd, v39, v118 op_sel:[0,0,1] op_sel_hi:[1,1,0] neg_lo:[0,0,1] neg_hi:[0,0,1]
	v_mul_f16_e32 v148, 0xb94e, v70
	v_mul_f16_sdwa v116, v71, v40 dst_sel:DWORD dst_unused:UNUSED_PAD src0_sel:WORD_1 src1_sel:DWORD
	v_lshrrev_b32_e32 v149, 16, v41
	v_mul_f16_e32 v70, 0x394e, v71
	v_add_f16_e32 v75, v78, v75
	v_fma_f16 v78, v129, 0xb9fd, -v148
	v_pk_add_f16 v125, v122, v125
	v_fmamk_f16 v122, v41, 0xb5ac, v116
	v_fmamk_f16 v150, v149, 0xb9fd, v70
	v_mul_f16_e32 v151, 0x3770, v71
	v_fma_f16 v70, v149, 0xb9fd, -v70
	v_add_f16_e32 v78, v78, v120
	v_add_f16_e32 v130, v122, v130
	v_mul_f16_e32 v122, 0xbbf1, v71
	v_fmamk_f16 v120, v149, 0x3b15, v151
	v_add_f16_e32 v69, v70, v69
	v_mul_f16_e32 v70, 0x33a8, v71
	v_add_f16_e32 v77, v150, v77
	v_fma_f16 v150, v149, 0x3b15, -v151
	v_add_f16_e32 v79, v120, v79
	v_fmamk_f16 v120, v149, 0x2fb7, v122
	v_fma_f16 v151, v149, 0x2fb7, -v122
	v_fmamk_f16 v152, v149, 0xbbc4, v70
	v_pk_mul_f16 v122, 0x3a95bb7b, v71
	v_add_f16_e32 v72, v150, v72
	v_add_f16_e32 v131, v120, v131
	v_add_f16_e32 v123, v151, v123
	v_add_f16_e32 v68, v152, v68
	v_fma_f16 v70, v149, 0xbbc4, -v70
	v_pk_fma_f16 v150, 0xb5ac388b, v41, v122 op_sel:[0,0,1] op_sel_hi:[1,1,0] neg_lo:[0,0,1] neg_hi:[0,0,1]
	v_mul_f16_e32 v151, 0x3a95, v71
	v_mul_f16_sdwa v120, v73, v42 dst_sel:DWORD dst_unused:UNUSED_PAD src0_sel:WORD_1 src1_sel:DWORD
	v_lshrrev_b32_e32 v152, 16, v82
	v_mul_f16_e32 v71, 0x3bf1, v73
	v_add_f16_e32 v70, v70, v75
	;; [unrolled: 30-line block ×3, first 2 shown]
	v_pk_add_f16 v150, v71, v150
	v_fma_f16 v68, v152, 0xb5ac, -v155
	v_fmamk_f16 v70, v83, 0xbbc4, v123
	v_fmamk_f16 v71, v156, 0x3b15, v72
	v_mul_f16_e32 v73, 0xb94e, v76
	v_fma_f16 v72, v156, 0x3b15, -v72
	v_add_f16_e32 v158, v68, v75
	v_add_f16_e32 v68, v70, v78
	;; [unrolled: 1-line block ×3, first 2 shown]
	v_fmamk_f16 v70, v156, 0xb9fd, v73
	v_fma_f16 v73, v156, 0xb9fd, -v73
	v_pk_fma_f16 v75, 0x3b15bbc4, v37, v26 op_sel:[0,0,1] op_sel_hi:[1,1,0]
	v_mul_f16_e32 v77, 0x3b15, v126
	v_add_f16_e32 v69, v72, v69
	v_add_f16_e32 v72, v70, v79
	v_pk_mul_f16 v126, 0x388b3b15, v38
	v_add_f16_e32 v70, v73, v153
	v_pack_b32_f16 v73, v128, v75
	v_perm_b32 v75, v0, v77, 0x5040100
	v_mul_f16_e32 v77, 0x3a95, v76
	v_pack_b32_f16 v78, v127, v126
	v_perm_b32 v79, v109, v0, 0x7060302
	v_pk_mul_f16 v127, 0x2fb7b9fd, v39
	v_mul_f16_e32 v128, 0xb9fd, v129
	v_fmamk_f16 v129, v156, 0x388b, v77
	v_pk_add_f16 v75, v73, v75
	v_pk_add_f16 v78, v78, v79
	v_pack_b32_f16 v79, v148, v127
	v_bfi_b32 v148, 0xffff, v128, v118
	v_add_f16_e32 v73, v129, v131
	v_pk_mul_f16 v128, 0xb5ac388b, v41
	v_mul_f16_e32 v129, 0x388b, v149
	v_pk_add_f16 v78, v78, v75
	v_pk_add_f16 v79, v79, v148
	v_fma_f16 v75, v156, 0x388b, -v77
	v_pack_b32_f16 v77, v151, v128
	v_bfi_b32 v131, 0xffff, v129, v122
	v_pk_mul_f16 v129, 0xb9fdb5ac, v82
	v_mul_f16_e32 v148, 0xb5ac, v152
	v_add_f16_e32 v75, v75, v130
	v_pk_add_f16 v78, v79, v78
	v_pk_add_f16 v77, v77, v131
	v_pack_b32_f16 v79, v155, v129
	v_bfi_b32 v148, 0xffff, v148, v125
	v_pk_mul_f16 v131, 0x3bf1b3a8, v76
	v_mul_f16_e32 v149, 0x3bf1, v76
	v_mul_f16_e32 v151, 0x2fb7, v156
	v_pk_mul_f16 v130, 0xbbc42fb7, v83
	v_pk_add_f16 v77, v77, v78
	v_pk_add_f16 v78, v79, v148
	v_fmac_f16_e32 v98, 0x388b, v89
	v_bfi_b32 v79, 0xffff, v151, v131
	v_pack_b32_f16 v148, v149, v130
	v_pk_add_f16 v81, v132, v81
	v_pk_add_f16 v78, v78, v77
	v_add_f16_e32 v98, v98, v133
	v_mul_f16_e32 v133, 0xb3a8, v24
	v_pk_add_f16 v148, v148, v79
	v_pk_add_f16 v97, v97, v134
	v_fma_f16 v121, v113, 0xb5ac, -v121
	v_fmac_f16_e32 v114, 0x2fb7, v90
	v_fmamk_f16 v134, v113, 0xbbc4, v133
	v_pk_add_f16 v78, v148, v78
	v_mul_f16_sdwa v148, v24, v80 dst_sel:DWORD dst_unused:UNUSED_PAD src0_sel:WORD_1 src1_sel:DWORD
	v_fma_f16 v133, v113, 0xbbc4, -v133
	v_add_f16_e32 v121, v121, v135
	v_add_f16_e32 v134, v134, v137
	v_mul_f16_sdwa v86, v24, v86 dst_sel:DWORD dst_unused:UNUSED_PAD src0_sel:WORD_1 src1_sel:DWORD
	v_fma_f16 v132, v89, 0xbbc4, -v148
	v_fmac_f16_e32 v148, 0xbbc4, v89
	v_add_f16_e32 v133, v133, v139
	v_mul_f16_e32 v139, 0x3bf1, v24
	v_mul_f16_sdwa v85, v33, v85 dst_sel:DWORD dst_unused:UNUSED_PAD src0_sel:WORD_1 src1_sel:DWORD
	v_add_f16_e32 v132, v132, v136
	v_mul_f16_e32 v136, 0x394e, v24
	v_add_f16_e32 v137, v148, v138
	v_fma_f16 v115, v107, 0xbbc4, -v115
	v_add_f16_e32 v98, v114, v98
	v_mul_f16_e32 v114, 0x3b7b, v33
	v_fmamk_f16 v138, v113, 0xb9fd, v136
	v_fma_f16 v135, v89, 0xb9fd, -v86
	v_fma_f16 v136, v113, 0xb9fd, -v136
	v_pk_add_f16 v97, v112, v97
	v_add_f16_e32 v112, v115, v121
	v_add_f16_e32 v138, v138, v141
	v_fmamk_f16 v141, v113, 0x2fb7, v139
	v_fma_f16 v113, v113, 0x2fb7, -v139
	v_mul_f16_sdwa v115, v33, v67 dst_sel:DWORD dst_unused:UNUSED_PAD src0_sel:WORD_1 src1_sel:DWORD
	v_fmamk_f16 v121, v107, 0xb5ac, v114
	v_add_f16_e32 v135, v135, v140
	v_add_f16_e32 v139, v141, v145
	v_fma_f16 v141, v90, 0xb5ac, -v85
	v_fmac_f16_e32 v86, 0xb9fd, v89
	v_fmac_f16_e32 v85, 0xb5ac, v90
	v_fma_f16 v114, v107, 0xb5ac, -v114
	v_add_f16_e32 v121, v121, v134
	v_add_f16_e32 v132, v141, v132
	v_fma_f16 v141, v90, 0x3b15, -v115
	v_mul_f16_e32 v134, 0x3770, v33
	v_add_f16_e32 v86, v86, v142
	v_add_f16_e32 v85, v85, v137
	;; [unrolled: 1-line block ×4, first 2 shown]
	v_fmamk_f16 v137, v107, 0x3b15, v134
	v_fmac_f16_e32 v115, 0x3b15, v90
	v_mul_f16_e32 v141, 0xba95, v33
	v_add_f16_e32 v113, v113, v147
	v_fma_f16 v134, v107, 0x3b15, -v134
	v_add_f16_e32 v137, v137, v138
	v_add_f16_e32 v86, v115, v86
	v_fmamk_f16 v115, v107, 0x388b, v141
	v_fma_f16 v107, v107, 0x388b, -v141
	v_fmac_f16_e32 v106, 0xb5ac, v34
	v_mul_f16_sdwa v138, v29, v67 dst_sel:DWORD dst_unused:UNUSED_PAD src0_sel:WORD_1 src1_sel:DWORD
	v_fma_f16 v110, v102, 0xb9fd, -v110
	v_mul_f16_sdwa v44, v29, v44 dst_sel:DWORD dst_unused:UNUSED_PAD src0_sel:WORD_1 src1_sel:DWORD
	v_add_f16_e32 v107, v107, v113
	v_add_f16_e32 v98, v106, v98
	v_fma_f16 v106, v34, 0x3b15, -v138
	v_mul_f16_e32 v113, 0x3770, v29
	v_add_f16_e32 v136, v136, v143
	v_pk_add_f16 v97, v105, v97
	v_add_f16_e32 v105, v110, v112
	v_add_f16_e32 v106, v106, v132
	v_fmamk_f16 v110, v102, 0x3b15, v113
	v_fma_f16 v112, v102, 0x3b15, -v113
	v_fma_f16 v113, v34, 0x2fb7, -v44
	v_mul_f16_e32 v132, 0xbbf1, v29
	v_mul_f16_sdwa v84, v24, v84 dst_sel:DWORD dst_unused:UNUSED_PAD src0_sel:WORD_1 src1_sel:DWORD
	v_add_f16_e32 v134, v134, v136
	v_add_f16_e32 v112, v112, v114
	;; [unrolled: 1-line block ×3, first 2 shown]
	v_fmamk_f16 v114, v102, 0x2fb7, v132
	v_fmac_f16_e32 v44, 0x2fb7, v34
	v_fma_f16 v132, v102, 0x2fb7, -v132
	v_mul_f16_e32 v133, 0x33a8, v29
	v_fma_f16 v140, v89, 0x2fb7, -v84
	v_fmac_f16_e32 v84, 0x2fb7, v89
	v_mul_f16_sdwa v135, v33, v43 dst_sel:DWORD dst_unused:UNUSED_PAD src0_sel:WORD_1 src1_sel:DWORD
	v_add_f16_e32 v115, v115, v139
	v_fmac_f16_e32 v138, 0x3b15, v34
	v_add_f16_e32 v110, v110, v121
	v_mul_f16_sdwa v121, v29, v87 dst_sel:DWORD dst_unused:UNUSED_PAD src0_sel:WORD_1 src1_sel:DWORD
	v_add_f16_e32 v44, v44, v86
	v_add_f16_e32 v86, v132, v134
	v_fmamk_f16 v132, v102, 0xbbc4, v133
	v_fma_f16 v102, v102, 0xbbc4, -v133
	v_fma_f16 v111, v100, 0x2fb7, -v111
	v_mul_f16_sdwa v43, v30, v43 dst_sel:DWORD dst_unused:UNUSED_PAD src0_sel:WORD_1 src1_sel:DWORD
	v_mul_f16_sdwa v87, v30, v87 dst_sel:DWORD dst_unused:UNUSED_PAD src0_sel:WORD_1 src1_sel:DWORD
	v_add_f16_e32 v84, v84, v146
	v_fma_f16 v142, v90, 0x388b, -v135
	v_fmac_f16_e32 v135, 0x388b, v90
	v_add_f16_e32 v85, v138, v85
	v_fmac_f16_e32 v99, 0xb9fd, v32
	v_add_f16_e32 v115, v132, v115
	v_add_f16_e32 v102, v102, v107
	;; [unrolled: 1-line block ×3, first 2 shown]
	v_mul_f16_e32 v107, 0x33a8, v30
	v_fma_f16 v111, v32, 0x388b, -v43
	v_fmac_f16_e32 v43, 0x388b, v32
	v_fma_f16 v132, v32, 0xbbc4, -v87
	v_fmac_f16_e32 v87, 0xbbc4, v32
	v_add_f16_e32 v91, v91, v124
	v_add_f16_e32 v84, v135, v84
	;; [unrolled: 1-line block ×3, first 2 shown]
	v_fma_f16 v135, v34, 0xbbc4, -v121
	v_fmac_f16_e32 v121, 0xbbc4, v34
	v_add_f16_e32 v98, v99, v98
	v_mul_f16_e32 v99, 0xba95, v30
	v_fmamk_f16 v133, v100, 0xbbc4, v107
	v_add_f16_e32 v43, v43, v85
	v_add_f16_e32 v85, v132, v113
	v_mul_f16_sdwa v67, v30, v67 dst_sel:DWORD dst_unused:UNUSED_PAD src0_sel:WORD_1 src1_sel:DWORD
	v_mul_f16_e32 v113, 0x3770, v30
	v_fma_f16 v107, v100, 0xbbc4, -v107
	v_add_f16_e32 v44, v87, v44
	v_add_f16_e32 v87, v93, v91
	;; [unrolled: 1-line block ×3, first 2 shown]
	v_fmamk_f16 v121, v100, 0x388b, v99
	v_add_f16_e32 v106, v111, v106
	v_add_f16_e32 v111, v133, v114
	v_fma_f16 v114, v32, 0x3b15, -v67
	v_add_f16_e32 v86, v107, v86
	v_fmac_f16_e32 v67, 0x3b15, v32
	v_fma_f16 v107, v100, 0x3b15, -v113
	v_add_f16_e32 v87, v94, v87
	v_fmac_f16_e32 v104, 0xbbc4, v92
	v_mul_f16_sdwa v42, v27, v42 dst_sel:DWORD dst_unused:UNUSED_PAD src0_sel:WORD_1 src1_sel:DWORD
	v_mul_f16_sdwa v88, v27, v88 dst_sel:DWORD dst_unused:UNUSED_PAD src0_sel:WORD_1 src1_sel:DWORD
	v_add_f16_e32 v110, v121, v110
	v_fmamk_f16 v121, v100, 0x3b15, v113
	v_fma_f16 v94, v100, 0x388b, -v99
	v_add_f16_e32 v67, v67, v84
	v_add_f16_e32 v84, v107, v102
	;; [unrolled: 1-line block ×4, first 2 shown]
	v_fma_f16 v98, v95, 0x3b15, -v103
	v_fma_f16 v100, v92, 0xb9fd, -v42
	v_fmac_f16_e32 v42, 0xb9fd, v92
	v_fma_f16 v102, v92, 0x388b, -v88
	v_mul_f16_e32 v103, 0x3a95, v27
	v_pk_mul_f16 v89, 0x3b15, v89 op_sel_hi:[0,1]
	v_pk_mul_f16 v90, 0xb9fd, v90 op_sel_hi:[0,1]
	v_add_f16_e32 v42, v42, v43
	v_add_f16_e32 v43, v102, v85
	v_fma_f16 v102, v95, 0x388b, -v103
	v_add_f16_e32 v140, v140, v144
	v_fmac_f16_e32 v88, 0x388b, v92
	v_mul_f16_sdwa v40, v27, v40 dst_sel:DWORD dst_unused:UNUSED_PAD src0_sel:WORD_1 src1_sel:DWORD
	v_pk_mul_f16 v34, 0x388b, v34 op_sel_hi:[0,1]
	v_add_f16_e32 v86, v102, v86
	v_pk_fma_f16 v102, 0x3770, v24, v89 op_sel:[0,0,1] op_sel_hi:[0,1,0] neg_lo:[0,1,0] neg_hi:[0,1,0]
	v_pk_fma_f16 v24, 0x3770, v24, v89 op_sel:[0,0,1] op_sel_hi:[0,1,0]
	v_add_f16_e32 v136, v142, v140
	v_fmamk_f16 v85, v95, 0x388b, v103
	v_add_f16_e32 v44, v88, v44
	v_pk_add_f16 v89, v102, v117
	v_pk_fma_f16 v102, 0xb94e, v33, v90 op_sel:[0,0,1] op_sel_hi:[0,1,0] neg_lo:[0,1,0] neg_hi:[0,1,0]
	v_pk_add_f16 v24, v24, v119
	v_pk_fma_f16 v33, 0xb94e, v33, v90 op_sel:[0,0,1] op_sel_hi:[0,1,0]
	v_fma_f16 v88, v92, 0xb5ac, -v40
	v_mul_f16_e32 v103, 0xbb7b, v27
	v_pk_add_f16 v89, v102, v89
	v_fmac_f16_e32 v40, 0xb5ac, v92
	v_pk_add_f16 v24, v33, v24
	v_pk_fma_f16 v33, 0x3a95, v29, v34 op_sel:[0,0,1] op_sel_hi:[0,1,0] neg_lo:[0,1,0] neg_hi:[0,1,0]
	v_pk_fma_f16 v29, 0x3a95, v29, v34 op_sel:[0,0,1] op_sel_hi:[0,1,0]
	v_pk_mul_f16 v32, 0xb5ac, v32 op_sel_hi:[0,1]
	v_add_f16_e32 v134, v135, v136
	v_add_f16_e32 v34, v40, v67
	v_fma_f16 v40, v95, 0xb5ac, -v103
	v_pk_add_f16 v33, v33, v89
	v_pk_add_f16 v24, v29, v24
	v_pk_fma_f16 v29, 0xbb7b, v30, v32 op_sel:[0,0,1] op_sel_hi:[0,1,0] neg_lo:[0,1,0] neg_hi:[0,1,0]
	v_pk_fma_f16 v30, 0xbb7b, v30, v32 op_sel:[0,0,1] op_sel_hi:[0,1,0]
	v_mul_f16_e32 v67, 0xb94e, v27
	v_mul_f16_e32 v99, 0xb9fd, v95
	v_add_f16_e32 v91, v114, v134
	v_add_f16_e32 v32, v40, v84
	v_pk_add_f16 v29, v29, v33
	v_pk_mul_f16 v33, 0x3770b3a8, v27
	v_pk_mul_f16 v84, 0x2fb7, v92 op_sel_hi:[0,1]
	v_pk_add_f16 v24, v30, v24
	v_bfi_b32 v30, 0xffff, v67, v97
	v_add_f16_e32 v87, v101, v87
	v_fmamk_f16 v101, v27, 0xb94e, v99
	v_add_f16_e32 v93, v121, v115
	v_add_f16_e32 v88, v88, v91
	v_fmamk_f16 v91, v95, 0xb5ac, v103
	v_pack_b32_f16 v28, v94, v28
	v_bfi_b32 v33, 0xffff, v112, v33
	v_pk_fma_f16 v67, 0x3bf1, v27, v84 op_sel:[0,0,1] op_sel_hi:[0,1,0] neg_lo:[0,1,0] neg_hi:[0,1,0]
	v_pk_fma_f16 v27, 0x3bf1, v27, v84 op_sel:[0,0,1] op_sel_hi:[0,1,0]
	v_pk_add_f16 v30, v99, v30 neg_lo:[0,1] neg_hi:[0,1]
	v_pk_add_f16 v31, v31, v97
	v_mul_f16_e32 v76, 0xbb7b, v76
	v_add_f16_e32 v100, v100, v106
	v_add_f16_e32 v101, v101, v110
	;; [unrolled: 1-line block ×4, first 2 shown]
	v_pk_add_f16 v24, v27, v24
	v_pk_add_f16 v27, v28, v33
	v_bfi_b32 v28, 0xffff, v30, v31
	v_fmamk_f16 v151, v156, 0xb5ac, v76
	v_fma_f16 v76, v156, 0xb5ac, -v76
	v_pk_fma_f16 v152, 0xbbc42fb7, v83, v131 op_sel:[0,0,1] op_sel_hi:[1,1,0] neg_lo:[0,0,1] neg_hi:[0,0,1]
	v_fma_f16 v149, v156, 0x2fb7, -v149
	v_pack_b32_f16 v40, v43, v85
	v_pack_b32_f16 v43, v100, v101
	v_pk_add_f16 v29, v67, v29
	v_add_co_u32 v31, null, v62, 13
	v_pack_b32_f16 v84, v88, v90
	v_add_f16_e32 v98, v98, v105
	v_pk_add_f16 v27, v28, v27
	v_add_f16_e32 v79, v151, v154
	v_add_f16_e32 v77, v76, v157
	v_pk_add_f16 v76, v152, v150
	v_add_f16_e32 v80, v149, v158
	ds_write2_b32 v74, v43, v40 offset0:3 offset1:4
	ds_write2_b32 v74, v81, v84 offset1:5
	v_alignbit_b32 v28, v29, v24, 16
	v_alignbit_b32 v24, v24, v29, 16
	v_mul_u32_u24_e32 v81, 13, v31
	v_pack_b32_f16 v29, v44, v86
	v_pack_b32_f16 v30, v34, v32
	v_alignbit_b32 v32, v98, v27, 16
	v_pack_b32_f16 v27, v42, v27
	v_pack_b32_f16 v33, v96, v87
	ds_write2_b32 v74, v24, v28 offset0:6 offset1:7
	ds_write2_b32 v74, v30, v29 offset0:8 offset1:9
	;; [unrolled: 1-line block ×3, first 2 shown]
	ds_write_b32 v74, v33 offset:48
	s_and_saveexec_b32 s0, vcc_lo
	s_cbranch_execz .LBB0_7
; %bb.6:
	v_pk_add_f16 v1, v1, v0
	v_pk_mul_f16 v33, 0x3b15bbc4, v37
	v_mul_f16_e32 v24, 0x3b15, v37
	v_alignbit_b32 v26, v26, v26, 16
	v_mul_f16_e32 v27, 0x388b, v38
	v_pk_add_f16 v1, v21, v1
	v_bfi_b32 v23, 0xffff, v23, v33
	v_alignbit_b32 v34, v109, v109, 16
	v_bfi_b32 v25, 0xffff, v25, v126
	v_mul_f16_e32 v28, 0x2fb7, v39
	v_pk_add_f16 v1, v22, v1
	v_pk_add_f16 v23, v24, v23 neg_lo:[0,1] neg_hi:[0,1]
	v_pk_add_f16 v24, v26, v33
	v_alignbit_b32 v21, v118, v118, 16
	v_pk_add_f16 v25, v27, v25 neg_lo:[0,1] neg_hi:[0,1]
	v_pk_add_f16 v1, v19, v1
	v_pk_add_f16 v19, v34, v126
	v_bfi_b32 v26, 0xffff, v108, v127
	v_bfi_b32 v23, 0xffff, v23, v24
	v_mul_f16_e32 v29, 0xb5ac, v41
	v_pk_add_f16 v1, v20, v1
	v_alignbit_b32 v37, v122, v122, 16
	v_bfi_b32 v24, 0xffff, v116, v128
	v_bfi_b32 v19, 0xffff, v25, v19
	v_pk_add_f16 v20, v28, v26 neg_lo:[0,1] neg_hi:[0,1]
	v_pk_add_f16 v1, v6, v1
	v_pk_add_f16 v21, v21, v127
	;; [unrolled: 1-line block ×3, first 2 shown]
	v_mul_f16_e32 v30, 0xb9fd, v82
	v_alignbit_b32 v22, v125, v125, 16
	v_pk_add_f16 v1, v7, v1
	v_pk_add_f16 v24, v29, v24 neg_lo:[0,1] neg_hi:[0,1]
	v_pk_add_f16 v6, v37, v128
	v_bfi_b32 v23, 0xffff, v120, v129
	v_bfi_b32 v20, 0xffff, v20, v21
	v_pk_add_f16 v0, v19, v0
	v_pk_add_f16 v1, v2, v1
	v_mul_f16_e32 v32, 0xbbc4, v83
	v_bfi_b32 v6, 0xffff, v24, v6
	v_pk_add_f16 v7, v30, v23 neg_lo:[0,1] neg_hi:[0,1]
	v_pk_add_f16 v19, v22, v129
	v_pk_add_f16 v0, v20, v0
	v_bfi_b32 v2, 0xffff, v123, v130
	v_alignbit_b32 v20, v131, v131, 16
	v_pk_add_f16 v1, v3, v1
	v_bfi_b32 v7, 0xffff, v7, v19
	v_pk_add_f16 v0, v6, v0
	v_pk_add_f16 v2, v32, v2 neg_lo:[0,1] neg_hi:[0,1]
	v_pk_add_f16 v3, v20, v130
	v_pk_add_f16 v1, v4, v1
	v_perm_b32 v4, v71, v13, 0x5040100
	v_pk_add_f16 v0, v7, v0
	v_perm_b32 v6, v77, v15, 0x5040100
	v_bfi_b32 v2, 0xffff, v2, v3
	v_pk_add_f16 v1, v5, v1
	v_lshl_add_u32 v3, v81, 2, v66
	v_perm_b32 v5, v79, v18, 0x5040100
	v_perm_b32 v7, v69, v12, 0x5040100
	v_pk_add_f16 v0, v2, v0
	v_perm_b32 v2, v72, v14, 0x5040100
	v_pk_add_f16 v1, v36, v1
	ds_write2_b32 v3, v4, v2 offset0:2 offset1:3
	ds_write2_b32 v3, v1, v0 offset1:1
	v_perm_b32 v0, v73, v17, 0x5040100
	v_perm_b32 v1, v78, v76, 0x5040100
	v_alignbit_b32 v2, v80, v78, 16
	v_perm_b32 v4, v75, v16, 0x5040100
	v_perm_b32 v19, v70, v11, 0x5040100
	v_bfi_b32 v20, 0xffff, v68, v76
	ds_write2_b32 v3, v0, v5 offset0:4 offset1:5
	ds_write2_b32 v3, v1, v2 offset0:6 offset1:7
	;; [unrolled: 1-line block ×4, first 2 shown]
	ds_write_b32 v3, v20 offset:48
.LBB0_7:
	s_or_b32 exec_lo, exec_lo, s0
	v_add_co_u32 v29, null, v62, 26
	v_lshlrev_b32_e32 v38, 4, v62
	s_waitcnt lgkmcnt(0)
	s_barrier
	v_and_b32_e32 v0, 0xff, v29
	buffer_gl0_inv
	global_load_dwordx4 v[4:7], v38, s[2:3]
	v_lshlrev_b32_e32 v30, 3, v62
	v_lshlrev_b32_e32 v31, 3, v31
	v_mul_lo_u16 v0, 0x4f, v0
	v_lshrrev_b16 v0, 10, v0
	v_mul_lo_u16 v0, v0, 13
	v_sub_nc_u16 v40, v29, v0
	v_lshlrev_b16 v0, 2, v40
	v_and_b32_e32 v40, 0xff, v40
	v_and_b32_e32 v0, 0xfc, v0
	v_lshl_add_u32 v82, v40, 2, v66
	v_lshlrev_b32_e32 v0, 2, v0
	global_load_dwordx4 v[0:3], v0, s[2:3]
	ds_read2_b32 v[27:28], v46 offset1:13
	ds_read2_b32 v[19:20], v46 offset0:26 offset1:39
	ds_read2_b32 v[33:34], v46 offset0:78 offset1:91
	;; [unrolled: 1-line block ×6, first 2 shown]
	ds_read_b32 v32, v46 offset:728
	s_waitcnt vmcnt(0) lgkmcnt(0)
	s_barrier
	buffer_gl0_inv
	v_add_co_u32 v38, s0, s2, v38
	v_add_co_ci_u32_e64 v39, null, s3, 0, s0
	v_sub_co_u32 v38, s0, v38, v30
	v_subrev_co_ci_u32_e64 v39, s0, 0, v39, s0
	v_lshrrev_b32_e32 v41, 16, v27
	v_lshrrev_b32_e32 v42, 16, v20
	;; [unrolled: 1-line block ×15, first 2 shown]
	s_add_u32 s0, s16, 0x30c
	s_addc_u32 s1, s17, 0
	v_mul_f16_sdwa v40, v42, v4 dst_sel:DWORD dst_unused:UNUSED_PAD src0_sel:DWORD src1_sel:WORD_1
	v_mul_f16_sdwa v93, v20, v4 dst_sel:DWORD dst_unused:UNUSED_PAD src0_sel:DWORD src1_sel:WORD_1
	;; [unrolled: 1-line block ×16, first 2 shown]
	v_fma_f16 v20, v20, v4, -v40
	v_fmac_f16_e32 v93, v42, v4
	v_fma_f16 v33, v33, v5, -v94
	v_fmac_f16_e32 v95, v43, v5
	;; [unrolled: 2-line block ×8, first 2 shown]
	v_add_f16_e32 v40, v27, v20
	v_add_f16_e32 v42, v33, v22
	v_sub_f16_e32 v43, v93, v99
	v_sub_f16_e32 v67, v20, v33
	;; [unrolled: 1-line block ×3, first 2 shown]
	v_add_f16_e32 v85, v20, v36
	v_sub_f16_e32 v86, v33, v20
	v_sub_f16_e32 v87, v22, v36
	v_add_f16_e32 v94, v41, v93
	v_add_f16_e32 v96, v95, v97
	v_sub_f16_e32 v100, v93, v95
	v_sub_f16_e32 v102, v99, v97
	v_add_f16_e32 v104, v93, v99
	v_sub_f16_e32 v93, v95, v93
	v_sub_f16_e32 v106, v97, v99
	v_add_f16_e32 v109, v34, v23
	v_add_f16_e32 v114, v25, v37
	v_add_f16_e32 v118, v103, v105
	v_add_f16_e32 v122, v101, v107
	v_sub_f16_e32 v20, v20, v36
	v_sub_f16_e32 v98, v33, v22
	v_add_f16_e32 v108, v28, v25
	v_sub_f16_e32 v111, v103, v105
	v_add_f16_e32 v117, v83, v101
	;; [unrolled: 2-line block ×3, first 2 shown]
	v_fma_f16 v40, -0.5, v42, v27
	v_add_f16_e32 v42, v67, v84
	v_fma_f16 v27, -0.5, v85, v27
	v_add_f16_e32 v67, v86, v87
	v_add_f16_e32 v84, v94, v95
	v_fma_f16 v85, -0.5, v96, v41
	v_add_f16_e32 v86, v100, v102
	v_add_f16_e32 v87, v93, v106
	v_fma_f16 v93, -0.5, v109, v28
	v_fmac_f16_e32 v28, -0.5, v114
	v_fma_f16 v100, -0.5, v118, v83
	v_fmac_f16_e32 v83, -0.5, v122
	v_sub_f16_e32 v44, v95, v97
	v_fmac_f16_e32 v41, -0.5, v104
	v_sub_f16_e32 v110, v101, v107
	v_sub_f16_e32 v112, v25, v34
	v_sub_f16_e32 v115, v34, v25
	v_sub_f16_e32 v116, v23, v37
	v_sub_f16_e32 v25, v25, v37
	v_sub_f16_e32 v120, v101, v103
	v_sub_f16_e32 v101, v103, v101
	v_sub_f16_e32 v123, v105, v107
	v_add_f16_e32 v34, v108, v34
	v_add_f16_e32 v96, v117, v103
	;; [unrolled: 1-line block ×3, first 2 shown]
	v_fmamk_f16 v33, v43, 0x3b9c, v40
	v_fmac_f16_e32 v40, 0xbb9c, v43
	v_add_f16_e32 v84, v84, v97
	v_fmamk_f16 v97, v20, 0xbb9c, v85
	v_fmac_f16_e32 v85, 0x3b9c, v20
	v_fmamk_f16 v106, v111, 0xbb9c, v28
	v_fmac_f16_e32 v28, 0x3b9c, v111
	;; [unrolled: 2-line block ×5, first 2 shown]
	v_sub_f16_e32 v113, v37, v23
	v_add_f16_e32 v95, v115, v116
	v_add_f16_e32 v101, v101, v123
	;; [unrolled: 1-line block ×4, first 2 shown]
	v_fmac_f16_e32 v33, 0x38b4, v44
	v_fmac_f16_e32 v40, 0xb8b4, v44
	;; [unrolled: 1-line block ×10, first 2 shown]
	v_add_f16_e32 v22, v22, v36
	v_add_f16_e32 v36, v84, v99
	;; [unrolled: 1-line block ×4, first 2 shown]
	v_fmac_f16_e32 v33, 0x34f2, v42
	v_fmac_f16_e32 v40, 0x34f2, v42
	;; [unrolled: 1-line block ×10, first 2 shown]
	v_pack_b32_f16 v22, v22, v36
	v_pack_b32_f16 v20, v20, v23
	;; [unrolled: 1-line block ×5, first 2 shown]
	v_mul_f16_sdwa v40, v89, v0 dst_sel:DWORD dst_unused:UNUSED_PAD src0_sel:DWORD src1_sel:WORD_1
	v_mul_f16_sdwa v42, v90, v1 dst_sel:DWORD dst_unused:UNUSED_PAD src0_sel:DWORD src1_sel:WORD_1
	;; [unrolled: 1-line block ×6, first 2 shown]
	v_sub_f16_e32 v121, v107, v105
	v_fmamk_f16 v105, v25, 0xbb9c, v100
	v_fmac_f16_e32 v100, 0x3b9c, v25
	v_fmac_f16_e32 v108, 0xb8b4, v25
	v_pack_b32_f16 v25, v103, v104
	v_pack_b32_f16 v27, v27, v41
	v_mul_f16_sdwa v41, v26, v0 dst_sel:DWORD dst_unused:UNUSED_PAD src0_sel:DWORD src1_sel:WORD_1
	v_mul_f16_sdwa v84, v32, v3 dst_sel:DWORD dst_unused:UNUSED_PAD src0_sel:DWORD src1_sel:WORD_1
	ds_write2_b32 v46, v22, v23 offset1:13
	ds_write2_b32 v46, v25, v27 offset0:26 offset1:39
	ds_write2_b32 v46, v33, v20 offset0:52 offset1:65
	v_fma_f16 v20, v26, v0, -v40
	v_fma_f16 v21, v21, v1, -v42
	v_fmac_f16_e32 v43, v90, v1
	v_fma_f16 v22, v24, v2, -v44
	v_fmac_f16_e32 v67, v91, v2
	;; [unrolled: 2-line block ×3, first 2 shown]
	v_fmac_f16_e32 v84, v92, v3
	v_add_f16_e32 v24, v19, v20
	v_add_f16_e32 v25, v21, v22
	;; [unrolled: 1-line block ×4, first 2 shown]
	v_sub_f16_e32 v32, v20, v21
	v_sub_f16_e32 v33, v23, v22
	v_add_f16_e32 v83, v88, v41
	v_add_f16_e32 v90, v41, v84
	v_sub_f16_e32 v26, v41, v84
	v_sub_f16_e32 v42, v21, v20
	;; [unrolled: 1-line block ×5, first 2 shown]
	v_add_f16_e32 v21, v24, v21
	v_fma_f16 v24, -0.5, v25, v19
	v_fmac_f16_e32 v19, -0.5, v40
	v_fma_f16 v40, -0.5, v85, v88
	v_sub_f16_e32 v27, v43, v67
	v_add_f16_e32 v25, v32, v33
	v_add_f16_e32 v33, v83, v43
	v_fmac_f16_e32 v88, -0.5, v90
	v_fmamk_f16 v34, v110, 0x3b9c, v93
	v_fmac_f16_e32 v93, 0xbb9c, v110
	v_sub_f16_e32 v87, v41, v43
	v_sub_f16_e32 v89, v84, v67
	v_add_f16_e32 v32, v42, v44
	v_add_f16_e32 v21, v21, v22
	v_fmamk_f16 v22, v26, 0x3b9c, v24
	v_fmamk_f16 v44, v20, 0xbb9c, v40
	v_sub_f16_e32 v41, v43, v41
	v_sub_f16_e32 v91, v67, v84
	v_fmamk_f16 v43, v27, 0xbb9c, v19
	v_fmac_f16_e32 v19, 0x3b9c, v27
	v_add_f16_e32 v33, v33, v67
	v_fmamk_f16 v67, v86, 0x3b9c, v88
	v_fmac_f16_e32 v88, 0xbb9c, v86
	v_fmac_f16_e32 v24, 0xbb9c, v26
	;; [unrolled: 1-line block ×3, first 2 shown]
	v_add_f16_e32 v94, v112, v113
	v_add_f16_e32 v102, v120, v121
	v_fmac_f16_e32 v34, 0x38b4, v111
	v_fmac_f16_e32 v106, 0x38b4, v110
	;; [unrolled: 1-line block ×5, first 2 shown]
	v_add_f16_e32 v42, v87, v89
	v_fmac_f16_e32 v22, 0x38b4, v27
	v_fmac_f16_e32 v44, 0xb8b4, v86
	v_add_f16_e32 v41, v41, v91
	v_fmac_f16_e32 v43, 0x38b4, v26
	v_fmac_f16_e32 v19, 0xb8b4, v26
	;; [unrolled: 1-line block ×12, first 2 shown]
	v_add_f16_e32 v21, v21, v23
	v_add_f16_e32 v23, v33, v84
	v_fmac_f16_e32 v22, 0x34f2, v25
	v_fmac_f16_e32 v44, 0x34f2, v42
	;; [unrolled: 1-line block ×8, first 2 shown]
	v_pack_b32_f16 v34, v34, v105
	v_pack_b32_f16 v36, v106, v108
	;; [unrolled: 1-line block ×8, first 2 shown]
	ds_write2_b32 v46, v34, v36 offset0:78 offset1:91
	ds_write2_b32 v46, v28, v37 offset0:104 offset1:117
	ds_write2_b32 v82, v20, v21 offset0:130 offset1:143
	ds_write2_b32 v82, v22, v19 offset0:156 offset1:169
	ds_write_b32 v82, v23 offset:728
	v_lshlrev_b32_e32 v19, 3, v29
	v_add_nc_u32_e32 v20, 0x138, v30
	s_waitcnt lgkmcnt(0)
	s_barrier
	buffer_gl0_inv
	s_clause 0x2
	global_load_dwordx2 v[27:28], v[38:39], off offset:208
	global_load_dwordx2 v[25:26], v31, s[2:3] offset:208
	global_load_dwordx2 v[23:24], v19, s[2:3] offset:208
	v_add_nc_u32_e32 v19, 0x1a0, v30
	s_clause 0x1
	global_load_dwordx2 v[21:22], v20, s[2:3] offset:208
	global_load_dwordx2 v[19:20], v19, s[2:3] offset:208
	ds_read2_b32 v[32:33], v46 offset1:13
	ds_read2_b32 v[30:31], v46 offset0:52 offset1:65
	ds_read2_b32 v[36:37], v46 offset0:130 offset1:143
	;; [unrolled: 1-line block ×6, first 2 shown]
	ds_read_b32 v29, v46 offset:728
	v_lshl_add_u32 v67, v62, 2, v66
	s_waitcnt lgkmcnt(7)
	v_lshrrev_b32_e32 v34, 16, v32
	s_waitcnt lgkmcnt(6)
	v_lshrrev_b32_e32 v44, 16, v31
	;; [unrolled: 2-line block ×4, first 2 shown]
	v_lshrrev_b32_e32 v89, 16, v37
	v_lshrrev_b32_e32 v91, 16, v39
	s_waitcnt lgkmcnt(2)
	v_lshrrev_b32_e32 v92, 16, v42
	s_waitcnt lgkmcnt(1)
	v_lshrrev_b32_e32 v94, 16, v85
	v_lshrrev_b32_e32 v95, 16, v43
	;; [unrolled: 1-line block ×3, first 2 shown]
	s_waitcnt lgkmcnt(0)
	v_lshrrev_b32_e32 v97, 16, v29
	v_lshrrev_b32_e32 v87, 16, v33
	;; [unrolled: 1-line block ×5, first 2 shown]
	s_waitcnt vmcnt(4)
	v_mul_f16_sdwa v98, v44, v27 dst_sel:DWORD dst_unused:UNUSED_PAD src0_sel:DWORD src1_sel:WORD_1
	v_mul_f16_sdwa v99, v31, v27 dst_sel:DWORD dst_unused:UNUSED_PAD src0_sel:DWORD src1_sel:WORD_1
	v_mul_f16_sdwa v100, v83, v28 dst_sel:DWORD dst_unused:UNUSED_PAD src0_sel:DWORD src1_sel:WORD_1
	v_mul_f16_sdwa v101, v36, v28 dst_sel:DWORD dst_unused:UNUSED_PAD src0_sel:DWORD src1_sel:WORD_1
	s_waitcnt vmcnt(3)
	v_mul_f16_sdwa v102, v88, v25 dst_sel:DWORD dst_unused:UNUSED_PAD src0_sel:DWORD src1_sel:WORD_1
	v_mul_f16_sdwa v103, v38, v25 dst_sel:DWORD dst_unused:UNUSED_PAD src0_sel:DWORD src1_sel:WORD_1
	v_mul_f16_sdwa v104, v89, v26 dst_sel:DWORD dst_unused:UNUSED_PAD src0_sel:DWORD src1_sel:WORD_1
	v_mul_f16_sdwa v105, v37, v26 dst_sel:DWORD dst_unused:UNUSED_PAD src0_sel:DWORD src1_sel:WORD_1
	;; [unrolled: 5-line block ×5, first 2 shown]
	v_fma_f16 v31, v31, v27, -v98
	v_fmac_f16_e32 v99, v44, v27
	v_fma_f16 v36, v36, v28, -v100
	v_fmac_f16_e32 v101, v83, v28
	;; [unrolled: 2-line block ×10, first 2 shown]
	v_add_f16_e32 v85, v32, v31
	v_add_f16_e32 v86, v31, v36
	;; [unrolled: 1-line block ×6, first 2 shown]
	v_sub_f16_e32 v88, v99, v101
	v_sub_f16_e32 v95, v103, v105
	v_add_f16_e32 v96, v87, v103
	v_add_f16_e32 v99, v39, v42
	;; [unrolled: 1-line block ×9, first 2 shown]
	v_sub_f16_e32 v114, v115, v117
	v_add_f16_e32 v116, v84, v115
	v_add_f16_e32 v115, v115, v117
	v_sub_f16_e32 v31, v31, v36
	v_sub_f16_e32 v38, v38, v37
	;; [unrolled: 1-line block ×3, first 2 shown]
	v_add_f16_e32 v104, v41, v44
	v_sub_f16_e32 v107, v111, v113
	v_add_f16_e32 v108, v93, v111
	v_add_f16_e32 v111, v30, v83
	;; [unrolled: 1-line block ×3, first 2 shown]
	v_fma_f16 v32, -0.5, v86, v32
	v_add_f16_e32 v85, v89, v101
	v_fmac_f16_e32 v34, -0.5, v91
	v_fmac_f16_e32 v33, -0.5, v94
	;; [unrolled: 1-line block ×3, first 2 shown]
	v_sub_f16_e32 v39, v39, v42
	v_sub_f16_e32 v44, v44, v43
	v_fma_f16 v40, -0.5, v99, v40
	v_fmac_f16_e32 v90, -0.5, v103
	v_fmac_f16_e32 v41, -0.5, v106
	v_fmac_f16_e32 v93, -0.5, v110
	v_add_f16_e32 v37, v92, v37
	v_add_f16_e32 v86, v96, v105
	v_add_f16_e32 v42, v98, v42
	v_add_f16_e32 v89, v102, v109
	v_sub_f16_e32 v118, v83, v29
	v_fmac_f16_e32 v30, -0.5, v112
	v_fmac_f16_e32 v84, -0.5, v115
	v_add_f16_e32 v43, v104, v43
	v_add_f16_e32 v91, v108, v113
	;; [unrolled: 1-line block ×4, first 2 shown]
	v_fmamk_f16 v96, v88, 0x3aee, v32
	v_fmac_f16_e32 v32, 0xbaee, v88
	v_fmamk_f16 v88, v31, 0xbaee, v34
	v_fmac_f16_e32 v34, 0x3aee, v31
	;; [unrolled: 2-line block ×3, first 2 shown]
	v_fmamk_f16 v95, v38, 0xbaee, v87
	v_pack_b32_f16 v36, v36, v85
	v_fmac_f16_e32 v87, 0x3aee, v38
	v_fmamk_f16 v38, v100, 0x3aee, v40
	v_fmamk_f16 v97, v39, 0xbaee, v90
	v_fmac_f16_e32 v90, 0x3aee, v39
	v_fmamk_f16 v39, v107, 0x3aee, v41
	v_fmamk_f16 v98, v44, 0xbaee, v93
	v_fmac_f16_e32 v40, 0xbaee, v100
	v_fmac_f16_e32 v41, 0xbaee, v107
	;; [unrolled: 1-line block ×3, first 2 shown]
	v_pack_b32_f16 v37, v37, v86
	v_pack_b32_f16 v42, v42, v89
	v_fmamk_f16 v29, v114, 0x3aee, v30
	v_fmac_f16_e32 v30, 0xbaee, v114
	v_fmamk_f16 v83, v118, 0xbaee, v84
	v_fmac_f16_e32 v84, 0x3aee, v118
	v_pack_b32_f16 v43, v43, v91
	v_pack_b32_f16 v44, v92, v94
	ds_write_b32 v46, v36
	v_pack_b32_f16 v36, v96, v88
	v_pack_b32_f16 v31, v31, v95
	;; [unrolled: 1-line block ×6, first 2 shown]
	ds_write2_b32 v67, v37, v42 offset0:13 offset1:26
	v_pack_b32_f16 v37, v40, v90
	v_pack_b32_f16 v39, v41, v93
	;; [unrolled: 1-line block ×4, first 2 shown]
	ds_write2_b32 v67, v43, v44 offset0:39 offset1:52
	ds_write2_b32 v67, v36, v31 offset0:65 offset1:78
	;; [unrolled: 1-line block ×6, first 2 shown]
	s_waitcnt lgkmcnt(0)
	s_barrier
	buffer_gl0_inv
	s_clause 0xc
	global_load_dword v44, v[8:9], off offset:780
	global_load_dword v85, v35, s[0:1] offset:60
	global_load_dword v86, v35, s[0:1] offset:120
	;; [unrolled: 1-line block ×12, first 2 shown]
	ds_read2_b32 v[31:32], v46 offset1:15
	ds_read2_b32 v[33:34], v46 offset0:30 offset1:45
	ds_read2_b32 v[36:37], v46 offset0:60 offset1:75
	;; [unrolled: 1-line block ×5, first 2 shown]
	ds_read_b32 v97, v46 offset:720
	s_waitcnt lgkmcnt(6)
	v_lshrrev_b32_e32 v98, 16, v31
	v_lshrrev_b32_e32 v99, 16, v32
	s_waitcnt lgkmcnt(5)
	v_lshrrev_b32_e32 v100, 16, v33
	v_lshrrev_b32_e32 v101, 16, v34
	;; [unrolled: 3-line block ×6, first 2 shown]
	s_waitcnt lgkmcnt(0)
	v_lshrrev_b32_e32 v110, 16, v97
	s_waitcnt vmcnt(12)
	v_mul_f16_sdwa v111, v98, v44 dst_sel:DWORD dst_unused:UNUSED_PAD src0_sel:DWORD src1_sel:WORD_1
	v_mul_f16_sdwa v112, v31, v44 dst_sel:DWORD dst_unused:UNUSED_PAD src0_sel:DWORD src1_sel:WORD_1
	s_waitcnt vmcnt(11)
	v_mul_f16_sdwa v113, v99, v85 dst_sel:DWORD dst_unused:UNUSED_PAD src0_sel:DWORD src1_sel:WORD_1
	v_mul_f16_sdwa v114, v32, v85 dst_sel:DWORD dst_unused:UNUSED_PAD src0_sel:DWORD src1_sel:WORD_1
	;; [unrolled: 3-line block ×13, first 2 shown]
	v_fma_f16 v31, v31, v44, -v111
	v_fmac_f16_e32 v112, v98, v44
	v_fma_f16 v32, v32, v85, -v113
	v_fmac_f16_e32 v114, v99, v85
	;; [unrolled: 2-line block ×13, first 2 shown]
	v_pack_b32_f16 v31, v31, v112
	v_pack_b32_f16 v32, v32, v114
	;; [unrolled: 1-line block ×13, first 2 shown]
	ds_write2_b32 v46, v31, v32 offset1:15
	ds_write2_b32 v46, v33, v34 offset0:30 offset1:45
	ds_write2_b32 v46, v36, v37 offset0:60 offset1:75
	;; [unrolled: 1-line block ×5, first 2 shown]
	ds_write_b32 v46, v44 offset:720
	s_and_saveexec_b32 s2, vcc_lo
	s_cbranch_execz .LBB0_9
; %bb.8:
	v_add_co_u32 v31, s0, s0, v35
	v_add_co_ci_u32_e64 v32, null, s1, 0, s0
	s_clause 0xc
	global_load_dword v33, v[31:32], off offset:52
	global_load_dword v43, v[31:32], off offset:112
	;; [unrolled: 1-line block ×13, first 2 shown]
	ds_read_b32 v31, v67 offset:52
	s_waitcnt lgkmcnt(0)
	v_lshrrev_b32_e32 v32, 16, v31
	s_waitcnt vmcnt(12)
	v_mul_f16_sdwa v34, v32, v33 dst_sel:DWORD dst_unused:UNUSED_PAD src0_sel:DWORD src1_sel:WORD_1
	v_mul_f16_sdwa v35, v31, v33 dst_sel:DWORD dst_unused:UNUSED_PAD src0_sel:DWORD src1_sel:WORD_1
	v_fma_f16 v31, v31, v33, -v34
	v_fmac_f16_e32 v35, v32, v33
	v_pack_b32_f16 v31, v31, v35
	ds_write_b32 v67, v31 offset:52
	ds_read2_b32 v[31:32], v46 offset0:28 offset1:43
	ds_read2_b32 v[33:34], v46 offset0:58 offset1:73
	;; [unrolled: 1-line block ×6, first 2 shown]
	s_waitcnt lgkmcnt(5)
	v_lshrrev_b32_e32 v95, 16, v31
	s_waitcnt vmcnt(11)
	v_mul_f16_sdwa v96, v31, v43 dst_sel:DWORD dst_unused:UNUSED_PAD src0_sel:DWORD src1_sel:WORD_1
	v_lshrrev_b32_e32 v97, 16, v32
	s_waitcnt vmcnt(10)
	v_mul_f16_sdwa v98, v32, v44 dst_sel:DWORD dst_unused:UNUSED_PAD src0_sel:DWORD src1_sel:WORD_1
	s_waitcnt lgkmcnt(4)
	v_lshrrev_b32_e32 v99, 16, v33
	s_waitcnt vmcnt(9)
	v_mul_f16_sdwa v100, v33, v85 dst_sel:DWORD dst_unused:UNUSED_PAD src0_sel:DWORD src1_sel:WORD_1
	v_lshrrev_b32_e32 v101, 16, v34
	s_waitcnt vmcnt(8)
	v_mul_f16_sdwa v102, v34, v86 dst_sel:DWORD dst_unused:UNUSED_PAD src0_sel:DWORD src1_sel:WORD_1
	;; [unrolled: 7-line block ×5, first 2 shown]
	s_waitcnt lgkmcnt(0)
	v_lshrrev_b32_e32 v115, 16, v41
	s_waitcnt vmcnt(1)
	v_mul_f16_sdwa v116, v41, v93 dst_sel:DWORD dst_unused:UNUSED_PAD src0_sel:DWORD src1_sel:WORD_1
	v_lshrrev_b32_e32 v117, 16, v42
	v_mul_f16_sdwa v119, v95, v43 dst_sel:DWORD dst_unused:UNUSED_PAD src0_sel:DWORD src1_sel:WORD_1
	v_fmac_f16_e32 v96, v95, v43
	v_mul_f16_sdwa v95, v97, v44 dst_sel:DWORD dst_unused:UNUSED_PAD src0_sel:DWORD src1_sel:WORD_1
	v_fmac_f16_e32 v98, v97, v44
	;; [unrolled: 2-line block ×9, first 2 shown]
	v_mul_f16_sdwa v111, v113, v92 dst_sel:DWORD dst_unused:UNUSED_PAD src0_sel:DWORD src1_sel:WORD_1
	s_waitcnt vmcnt(0)
	v_mul_f16_sdwa v118, v42, v94 dst_sel:DWORD dst_unused:UNUSED_PAD src0_sel:DWORD src1_sel:WORD_1
	v_fmac_f16_e32 v114, v113, v92
	v_mul_f16_sdwa v113, v115, v93 dst_sel:DWORD dst_unused:UNUSED_PAD src0_sel:DWORD src1_sel:WORD_1
	v_fmac_f16_e32 v116, v115, v93
	v_mul_f16_sdwa v115, v117, v94 dst_sel:DWORD dst_unused:UNUSED_PAD src0_sel:DWORD src1_sel:WORD_1
	v_fma_f16 v31, v31, v43, -v119
	v_fma_f16 v32, v32, v44, -v95
	v_fma_f16 v33, v33, v85, -v97
	v_fma_f16 v34, v34, v86, -v99
	v_fma_f16 v35, v35, v87, -v101
	v_fma_f16 v36, v36, v88, -v103
	v_fma_f16 v37, v37, v89, -v105
	v_fma_f16 v38, v38, v90, -v107
	v_fma_f16 v39, v39, v91, -v109
	v_fma_f16 v40, v40, v92, -v111
	v_fmac_f16_e32 v118, v117, v94
	v_fma_f16 v41, v41, v93, -v113
	v_fma_f16 v42, v42, v94, -v115
	v_pack_b32_f16 v31, v31, v96
	v_pack_b32_f16 v32, v32, v98
	v_pack_b32_f16 v33, v33, v100
	v_pack_b32_f16 v34, v34, v102
	v_pack_b32_f16 v35, v35, v104
	v_pack_b32_f16 v36, v36, v106
	v_pack_b32_f16 v37, v37, v108
	v_pack_b32_f16 v38, v38, v110
	v_pack_b32_f16 v39, v39, v112
	v_pack_b32_f16 v40, v40, v114
	v_pack_b32_f16 v41, v41, v116
	v_pack_b32_f16 v42, v42, v118
	ds_write2_b32 v46, v31, v32 offset0:28 offset1:43
	ds_write2_b32 v46, v33, v34 offset0:58 offset1:73
	;; [unrolled: 1-line block ×6, first 2 shown]
.LBB0_9:
	s_or_b32 exec_lo, exec_lo, s2
	s_waitcnt lgkmcnt(0)
	s_barrier
	buffer_gl0_inv
	ds_read2_b32 v[33:34], v46 offset1:15
	ds_read2_b32 v[41:42], v46 offset0:30 offset1:45
	ds_read2_b32 v[37:38], v46 offset0:60 offset1:75
	;; [unrolled: 1-line block ×5, first 2 shown]
	ds_read_b32 v88, v46 offset:720
	v_lshrrev_b32_e32 v32, 16, v78
	s_and_saveexec_b32 s0, vcc_lo
	s_cbranch_execz .LBB0_11
; %bb.10:
	ds_read2_b32 v[29:30], v67 offset0:13 offset1:28
	ds_read2_b32 v[13:14], v67 offset0:43 offset1:58
	;; [unrolled: 1-line block ×6, first 2 shown]
	ds_read_b32 v68, v67 offset:772
	s_waitcnt lgkmcnt(6)
	v_lshrrev_b32_e32 v83, 16, v29
	v_lshrrev_b32_e32 v84, 16, v30
	s_waitcnt lgkmcnt(5)
	v_lshrrev_b32_e32 v71, 16, v13
	v_lshrrev_b32_e32 v72, 16, v14
	;; [unrolled: 3-line block ×6, first 2 shown]
	s_waitcnt lgkmcnt(0)
	v_bfi_b32 v76, 0xffff, v31, v68
.LBB0_11:
	s_or_b32 exec_lo, exec_lo, s0
	s_waitcnt lgkmcnt(6)
	v_pk_add_f16 v85, v33, v34
	s_waitcnt lgkmcnt(0)
	v_pk_add_f16 v87, v88, v34
	v_pk_add_f16 v34, v34, v88 neg_lo:[0,1] neg_hi:[0,1]
	v_pk_add_f16 v112, v41, v44 neg_lo:[0,1] neg_hi:[0,1]
	v_mov_b32_e32 v90, 0x388b
	v_pk_add_f16 v85, v85, v41
	v_pk_add_f16 v115, v44, v41
	v_pk_mul_f16 v86, 0xb770, v34 op_sel_hi:[0,1]
	v_mov_b32_e32 v89, 0xba95
	v_mov_b32_e32 v94, 0xb5ac
	v_pk_add_f16 v85, v85, v42
	v_mul_f16_sdwa v98, v87, v90 dst_sel:DWORD dst_unused:UNUSED_PAD src0_sel:WORD_1 src1_sel:DWORD
	v_mov_b32_e32 v92, 0x2fb7
	v_mov_b32_e32 v93, 0xbb7b
	v_mul_f16_sdwa v97, v34, v89 dst_sel:DWORD dst_unused:UNUSED_PAD src0_sel:WORD_1 src1_sel:DWORD
	v_pk_add_f16 v85, v85, v37
	v_fmamk_f16 v105, v34, 0x3a95, v98
	v_mul_f16_sdwa v117, v115, v94 dst_sel:DWORD dst_unused:UNUSED_PAD src0_sel:WORD_1 src1_sel:DWORD
	v_mov_b32_e32 v91, 0xbbf1
	v_mul_f16_sdwa v100, v87, v92 dst_sel:DWORD dst_unused:UNUSED_PAD src0_sel:WORD_1 src1_sel:DWORD
	v_pk_add_f16 v85, v85, v38
	v_fmamk_f16 v104, v87, 0x388b, v97
	v_fma_f16 v97, v87, 0x388b, -v97
	v_fmac_f16_e32 v98, 0xba95, v34
	v_add_f16_sdwa v105, v33, v105 dst_sel:DWORD dst_unused:UNUSED_PAD src0_sel:WORD_1 src1_sel:DWORD
	v_pk_add_f16 v102, v85, v35
	v_pk_fma_f16 v85, 0x3b15, v87, v86 op_sel:[0,0,1] op_sel_hi:[0,1,0]
	v_pk_fma_f16 v86, 0x3b15, v87, v86 op_sel:[0,0,1] op_sel_hi:[0,1,0] neg_lo:[0,0,1] neg_hi:[0,0,1]
	v_mul_f16_sdwa v116, v112, v93 dst_sel:DWORD dst_unused:UNUSED_PAD src0_sel:WORD_1 src1_sel:DWORD
	v_fmamk_f16 v121, v112, 0x3b7b, v117
	v_pk_add_f16 v102, v102, v36
	v_mul_f16_sdwa v99, v34, v91 dst_sel:DWORD dst_unused:UNUSED_PAD src0_sel:WORD_1 src1_sel:DWORD
	v_bfi_b32 v110, 0xffff, v85, v86
	v_mul_f16_sdwa v101, v34, v93 dst_sel:DWORD dst_unused:UNUSED_PAD src0_sel:WORD_1 src1_sel:DWORD
	v_fmamk_f16 v107, v34, 0x3bf1, v100
	v_pk_add_f16 v102, v102, v39
	v_add_f16_e32 v104, v33, v104
	v_pk_add_f16 v110, v33, v110
	v_add_f16_e32 v97, v33, v97
	v_add_f16_sdwa v98, v33, v98 dst_sel:DWORD dst_unused:UNUSED_PAD src0_sel:WORD_1 src1_sel:DWORD
	v_pk_add_f16 v102, v102, v40
	v_fmamk_f16 v119, v115, 0xb5ac, v116
	v_mov_b32_e32 v120, 0xb3a8
	v_add_f16_e32 v105, v121, v105
	v_fma_f16 v116, v115, 0xb5ac, -v116
	v_pk_add_f16 v102, v102, v43
	v_fmac_f16_e32 v117, 0xbb7b, v112
	v_mov_b32_e32 v123, 0x394e
	v_mul_f16_sdwa v103, v87, v94 dst_sel:DWORD dst_unused:UNUSED_PAD src0_sel:WORD_1 src1_sel:DWORD
	v_fmamk_f16 v106, v87, 0x2fb7, v99
	v_pk_add_f16 v102, v102, v44
	v_pk_mul_f16 v44, 0xba95, v112 op_sel_hi:[0,1]
	v_fmamk_f16 v108, v87, 0xb5ac, v101
	v_add_f16_sdwa v107, v33, v107 dst_sel:DWORD dst_unused:UNUSED_PAD src0_sel:WORD_1 src1_sel:DWORD
	v_add_f16_e32 v104, v119, v104
	v_mul_f16_sdwa v119, v112, v120 dst_sel:DWORD dst_unused:UNUSED_PAD src0_sel:WORD_1 src1_sel:DWORD
	v_pk_fma_f16 v41, 0x388b, v115, v44 op_sel:[0,0,1] op_sel_hi:[0,1,0]
	v_pk_fma_f16 v44, 0x388b, v115, v44 op_sel:[0,0,1] op_sel_hi:[0,1,0] neg_lo:[0,0,1] neg_hi:[0,0,1]
	v_add_f16_e32 v97, v116, v97
	v_add_f16_e32 v98, v117, v98
	v_mul_f16_sdwa v117, v112, v123 dst_sel:DWORD dst_unused:UNUSED_PAD src0_sel:WORD_1 src1_sel:DWORD
	v_mov_b32_e32 v95, 0xb94e
	v_bfi_b32 v118, 0xffff, v41, v44
	v_mov_b32_e32 v96, 0xb9fd
	v_fma_f16 v99, v87, 0x2fb7, -v99
	v_fmamk_f16 v109, v34, 0x3b7b, v103
	v_fma_f16 v101, v87, 0xb5ac, -v101
	v_pk_add_f16 v110, v118, v110
	v_mov_b32_e32 v118, 0xbbc4
	v_add_f16_e32 v106, v33, v106
	v_pk_add_f16 v88, v102, v88
	v_add_f16_e32 v102, v33, v108
	v_fmamk_f16 v122, v115, 0xbbc4, v119
	v_mul_f16_sdwa v121, v115, v118 dst_sel:DWORD dst_unused:UNUSED_PAD src0_sel:WORD_1 src1_sel:DWORD
	v_fmac_f16_e32 v100, 0xbbf1, v34
	v_add_f16_e32 v99, v33, v99
	v_add_f16_sdwa v108, v33, v109 dst_sel:DWORD dst_unused:UNUSED_PAD src0_sel:WORD_1 src1_sel:DWORD
	v_mul_f16_sdwa v109, v34, v95 dst_sel:DWORD dst_unused:UNUSED_PAD src0_sel:WORD_1 src1_sel:DWORD
	v_fmamk_f16 v116, v112, 0x33a8, v121
	v_add_f16_e32 v101, v33, v101
	v_add_f16_e32 v106, v122, v106
	v_fma_f16 v119, v115, 0xbbc4, -v119
	v_mul_f16_sdwa v122, v115, v96 dst_sel:DWORD dst_unused:UNUSED_PAD src0_sel:WORD_1 src1_sel:DWORD
	v_add_f16_e32 v107, v116, v107
	v_fmamk_f16 v116, v115, 0xb9fd, v117
	v_mov_b32_e32 v124, 0x3bf1
	v_add_f16_sdwa v100, v33, v100 dst_sel:DWORD dst_unused:UNUSED_PAD src0_sel:WORD_1 src1_sel:DWORD
	v_mul_f16_sdwa v111, v87, v96 dst_sel:DWORD dst_unused:UNUSED_PAD src0_sel:WORD_1 src1_sel:DWORD
	v_fmac_f16_e32 v103, 0xbb7b, v34
	v_add_f16_e32 v102, v116, v102
	v_fma_f16 v116, v115, 0xb9fd, -v117
	v_fmamk_f16 v113, v87, 0xb9fd, v109
	v_fma_f16 v109, v87, 0xb9fd, -v109
	v_fmac_f16_e32 v121, 0xb3a8, v112
	v_add_f16_e32 v99, v119, v99
	v_fmamk_f16 v119, v112, 0xb94e, v122
	v_mul_f16_sdwa v117, v112, v124 dst_sel:DWORD dst_unused:UNUSED_PAD src0_sel:WORD_1 src1_sel:DWORD
	v_add_f16_e32 v101, v116, v101
	v_pk_add_f16 v116, v42, v43 neg_lo:[0,1] neg_hi:[0,1]
	v_fmamk_f16 v114, v34, 0x394e, v111
	v_add_f16_sdwa v103, v33, v103 dst_sel:DWORD dst_unused:UNUSED_PAD src0_sel:WORD_1 src1_sel:DWORD
	v_add_f16_e32 v113, v33, v113
	v_fmac_f16_e32 v111, 0xb94e, v34
	v_add_f16_e32 v109, v33, v109
	v_add_f16_e32 v100, v121, v100
	v_add_f16_e32 v108, v119, v108
	v_fmac_f16_e32 v122, 0x394e, v112
	v_mul_f16_sdwa v119, v115, v92 dst_sel:DWORD dst_unused:UNUSED_PAD src0_sel:WORD_1 src1_sel:DWORD
	v_fmamk_f16 v121, v115, 0x2fb7, v117
	v_pk_add_f16 v42, v43, v42
	v_pk_mul_f16 v43, 0xbbf1, v116 op_sel_hi:[0,1]
	v_fma_f16 v117, v115, 0x2fb7, -v117
	v_add_f16_sdwa v114, v33, v114 dst_sel:DWORD dst_unused:UNUSED_PAD src0_sel:WORD_1 src1_sel:DWORD
	v_add_f16_sdwa v111, v33, v111 dst_sel:DWORD dst_unused:UNUSED_PAD src0_sel:WORD_1 src1_sel:DWORD
	v_add_f16_e32 v103, v122, v103
	v_fmamk_f16 v122, v112, 0xbbf1, v119
	v_add_f16_e32 v113, v121, v113
	v_fmac_f16_e32 v119, 0x3bf1, v112
	v_pk_fma_f16 v121, 0x2fb7, v42, v43 op_sel:[0,0,1] op_sel_hi:[0,1,0]
	v_pk_fma_f16 v43, 0x2fb7, v42, v43 op_sel:[0,0,1] op_sel_hi:[0,1,0] neg_lo:[0,0,1] neg_hi:[0,0,1]
	v_add_f16_e32 v109, v117, v109
	v_mul_f16_sdwa v117, v116, v120 dst_sel:DWORD dst_unused:UNUSED_PAD src0_sel:WORD_1 src1_sel:DWORD
	v_mul_f16_sdwa v120, v42, v118 dst_sel:DWORD dst_unused:UNUSED_PAD src0_sel:WORD_1 src1_sel:DWORD
	v_add_f16_e32 v114, v122, v114
	v_add_f16_e32 v111, v119, v111
	v_bfi_b32 v119, 0xffff, v121, v43
	v_mov_b32_e32 v122, 0x3b7b
	v_fmamk_f16 v125, v42, 0xbbc4, v117
	v_fmamk_f16 v126, v116, 0x33a8, v120
	v_fma_f16 v117, v42, 0xbbc4, -v117
	v_pk_add_f16 v110, v119, v110
	v_mul_f16_sdwa v119, v116, v122 dst_sel:DWORD dst_unused:UNUSED_PAD src0_sel:WORD_1 src1_sel:DWORD
	v_add_f16_e32 v104, v125, v104
	v_add_f16_e32 v105, v126, v105
	v_fmac_f16_e32 v120, 0xb3a8, v116
	v_mul_f16_sdwa v125, v42, v94 dst_sel:DWORD dst_unused:UNUSED_PAD src0_sel:WORD_1 src1_sel:DWORD
	v_mov_b32_e32 v126, 0x3b15
	v_add_f16_e32 v97, v117, v97
	v_fmamk_f16 v117, v42, 0xb5ac, v119
	v_mov_b32_e32 v122, 0x3770
	v_add_f16_e32 v98, v120, v98
	v_fmamk_f16 v120, v116, 0xbb7b, v125
	v_mul_f16_sdwa v127, v42, v126 dst_sel:DWORD dst_unused:UNUSED_PAD src0_sel:WORD_1 src1_sel:DWORD
	v_add_f16_e32 v106, v117, v106
	v_mul_f16_sdwa v117, v116, v122 dst_sel:DWORD dst_unused:UNUSED_PAD src0_sel:WORD_1 src1_sel:DWORD
	v_fma_f16 v119, v42, 0xb5ac, -v119
	v_add_f16_e32 v107, v120, v107
	v_fmamk_f16 v120, v116, 0xb770, v127
	v_fmac_f16_e32 v125, 0x3b7b, v116
	v_fmamk_f16 v128, v42, 0x3b15, v117
	v_add_f16_e32 v99, v119, v99
	v_mul_f16_sdwa v119, v116, v89 dst_sel:DWORD dst_unused:UNUSED_PAD src0_sel:WORD_1 src1_sel:DWORD
	v_add_f16_e32 v108, v120, v108
	v_pk_add_f16 v120, v37, v40 neg_lo:[0,1] neg_hi:[0,1]
	v_add_f16_e32 v100, v125, v100
	v_add_f16_e32 v102, v128, v102
	v_fma_f16 v117, v42, 0x3b15, -v117
	v_fmamk_f16 v125, v42, 0x388b, v119
	v_mul_f16_sdwa v128, v42, v90 dst_sel:DWORD dst_unused:UNUSED_PAD src0_sel:WORD_1 src1_sel:DWORD
	v_pk_add_f16 v37, v40, v37
	v_pk_mul_f16 v40, 0xbb7b, v120 op_sel_hi:[0,1]
	v_fmac_f16_e32 v127, 0x3770, v116
	v_add_f16_e32 v101, v117, v101
	v_add_f16_e32 v113, v125, v113
	v_fmamk_f16 v117, v116, 0x3a95, v128
	v_pk_fma_f16 v125, 0xb5ac, v37, v40 op_sel:[0,0,1] op_sel_hi:[0,1,0]
	v_pk_fma_f16 v40, 0xb5ac, v37, v40 op_sel:[0,0,1] op_sel_hi:[0,1,0] neg_lo:[0,0,1] neg_hi:[0,0,1]
	v_mul_f16_sdwa v123, v120, v123 dst_sel:DWORD dst_unused:UNUSED_PAD src0_sel:WORD_1 src1_sel:DWORD
	v_fma_f16 v119, v42, 0x388b, -v119
	v_add_f16_e32 v103, v127, v103
	v_add_f16_e32 v114, v117, v114
	v_bfi_b32 v117, 0xffff, v125, v40
	v_fmamk_f16 v127, v37, 0xb9fd, v123
	v_add_f16_e32 v109, v119, v109
	v_mul_f16_sdwa v119, v37, v96 dst_sel:DWORD dst_unused:UNUSED_PAD src0_sel:WORD_1 src1_sel:DWORD
	v_fmac_f16_e32 v128, 0xba95, v116
	v_pk_add_f16 v110, v117, v110
	v_add_f16_e32 v104, v127, v104
	v_mul_f16_sdwa v117, v120, v122 dst_sel:DWORD dst_unused:UNUSED_PAD src0_sel:WORD_1 src1_sel:DWORD
	v_fmamk_f16 v127, v120, 0xb94e, v119
	v_fmac_f16_e32 v119, 0x394e, v120
	v_add_f16_e32 v111, v128, v111
	v_mul_f16_sdwa v128, v37, v126 dst_sel:DWORD dst_unused:UNUSED_PAD src0_sel:WORD_1 src1_sel:DWORD
	v_fma_f16 v123, v37, 0xb9fd, -v123
	v_fmamk_f16 v129, v37, 0x3b15, v117
	v_add_f16_e32 v98, v119, v98
	v_mul_f16_sdwa v91, v120, v91 dst_sel:DWORD dst_unused:UNUSED_PAD src0_sel:WORD_1 src1_sel:DWORD
	v_mul_f16_sdwa v119, v37, v92 dst_sel:DWORD dst_unused:UNUSED_PAD src0_sel:WORD_1 src1_sel:DWORD
	v_add_f16_e32 v105, v127, v105
	v_fmamk_f16 v127, v120, 0xb770, v128
	v_add_f16_e32 v97, v123, v97
	v_add_f16_e32 v106, v129, v106
	v_fmamk_f16 v123, v37, 0x2fb7, v91
	v_fmamk_f16 v129, v120, 0x3bf1, v119
	v_add_f16_e32 v107, v127, v107
	v_fma_f16 v117, v37, 0x3b15, -v117
	v_mov_b32_e32 v127, 0x33a8
	v_add_f16_e32 v102, v123, v102
	v_add_f16_e32 v108, v129, v108
	v_fma_f16 v91, v37, 0x2fb7, -v91
	v_pk_add_f16 v123, v38, v39 neg_lo:[0,1] neg_hi:[0,1]
	v_fmac_f16_e32 v119, 0xbbf1, v120
	v_mul_f16_sdwa v129, v37, v118 dst_sel:DWORD dst_unused:UNUSED_PAD src0_sel:WORD_1 src1_sel:DWORD
	v_fmac_f16_e32 v128, 0x3770, v120
	v_add_f16_e32 v99, v117, v99
	v_mul_f16_sdwa v117, v120, v127 dst_sel:DWORD dst_unused:UNUSED_PAD src0_sel:WORD_1 src1_sel:DWORD
	v_pk_add_f16 v38, v39, v38
	v_pk_mul_f16 v39, 0xb94e, v123 op_sel_hi:[0,1]
	v_add_f16_e32 v91, v91, v101
	v_add_f16_e32 v101, v119, v103
	v_fmamk_f16 v103, v120, 0xb3a8, v129
	v_add_f16_e32 v100, v128, v100
	v_fmamk_f16 v128, v37, 0xbbc4, v117
	v_pk_fma_f16 v119, 0xb9fd, v38, v39 op_sel:[0,0,1] op_sel_hi:[0,1,0]
	v_pk_fma_f16 v39, 0xb9fd, v38, v39 op_sel:[0,0,1] op_sel_hi:[0,1,0] neg_lo:[0,0,1] neg_hi:[0,0,1]
	v_fma_f16 v117, v37, 0xbbc4, -v117
	v_add_f16_e32 v103, v103, v114
	v_mul_f16_sdwa v114, v123, v124 dst_sel:DWORD dst_unused:UNUSED_PAD src0_sel:WORD_1 src1_sel:DWORD
	v_mul_f16_sdwa v92, v38, v92 dst_sel:DWORD dst_unused:UNUSED_PAD src0_sel:WORD_1 src1_sel:DWORD
	v_bfi_b32 v124, 0xffff, v119, v39
	v_add_f16_e32 v109, v117, v109
	v_mul_f16_sdwa v89, v123, v89 dst_sel:DWORD dst_unused:UNUSED_PAD src0_sel:WORD_1 src1_sel:DWORD
	v_fmamk_f16 v117, v38, 0x2fb7, v114
	v_fma_f16 v114, v38, 0x2fb7, -v114
	v_pk_add_f16 v110, v124, v110
	v_fmamk_f16 v124, v123, 0xbbf1, v92
	v_fmac_f16_e32 v92, 0x3bf1, v123
	v_add_f16_e32 v104, v117, v104
	v_fmamk_f16 v117, v38, 0x388b, v89
	v_add_f16_e32 v97, v114, v97
	v_mul_f16_sdwa v114, v38, v90 dst_sel:DWORD dst_unused:UNUSED_PAD src0_sel:WORD_1 src1_sel:DWORD
	v_add_f16_e32 v92, v92, v98
	v_add_f16_e32 v105, v124, v105
	;; [unrolled: 1-line block ×3, first 2 shown]
	v_mul_f16_sdwa v106, v123, v127 dst_sel:DWORD dst_unused:UNUSED_PAD src0_sel:WORD_1 src1_sel:DWORD
	v_mul_f16_sdwa v117, v38, v118 dst_sel:DWORD dst_unused:UNUSED_PAD src0_sel:WORD_1 src1_sel:DWORD
	v_fmamk_f16 v118, v123, 0x3a95, v114
	v_fma_f16 v89, v38, 0x388b, -v89
	v_fmac_f16_e32 v114, 0xba95, v123
	v_fmamk_f16 v124, v38, 0xbbc4, v106
	v_fmamk_f16 v127, v123, 0xb3a8, v117
	v_add_f16_e32 v107, v118, v107
	v_add_f16_e32 v89, v89, v99
	v_add_f16_e32 v99, v114, v100
	v_add_f16_e32 v100, v124, v102
	v_add_f16_e32 v102, v127, v108
	v_mul_f16_sdwa v108, v123, v122 dst_sel:DWORD dst_unused:UNUSED_PAD src0_sel:WORD_1 src1_sel:DWORD
	v_pk_add_f16 v118, v35, v36 neg_lo:[0,1] neg_hi:[0,1]
	v_fmac_f16_e32 v117, 0x33a8, v123
	v_pk_add_f16 v35, v36, v35
	v_fmac_f16_e32 v129, 0x33a8, v120
	v_mul_f16_sdwa v114, v38, v126 dst_sel:DWORD dst_unused:UNUSED_PAD src0_sel:WORD_1 src1_sel:DWORD
	v_fmamk_f16 v124, v38, 0x3b15, v108
	v_add_f16_e32 v101, v117, v101
	v_mul_f16_sdwa v117, v118, v122 dst_sel:DWORD dst_unused:UNUSED_PAD src0_sel:WORD_1 src1_sel:DWORD
	v_fma_f16 v108, v38, 0x3b15, -v108
	v_mul_f16_sdwa v122, v35, v126 dst_sel:DWORD dst_unused:UNUSED_PAD src0_sel:WORD_1 src1_sel:DWORD
	v_add_f16_e32 v113, v128, v113
	v_add_f16_e32 v111, v129, v111
	v_fma_f16 v106, v38, 0xbbc4, -v106
	v_fmamk_f16 v127, v123, 0xb770, v114
	v_pk_mul_f16 v36, 0xb3a8, v118 op_sel_hi:[0,1]
	v_fmac_f16_e32 v114, 0x3770, v123
	v_add_f16_e32 v108, v108, v109
	v_fmamk_f16 v109, v118, 0xb770, v122
	v_add_f16_e32 v91, v106, v91
	v_add_f16_e32 v106, v124, v113
	v_pk_fma_f16 v113, 0xbbc4, v35, v36 op_sel:[0,0,1] op_sel_hi:[0,1,0]
	v_pk_fma_f16 v36, 0xbbc4, v35, v36 op_sel:[0,0,1] op_sel_hi:[0,1,0] neg_lo:[0,0,1] neg_hi:[0,0,1]
	v_add_f16_e32 v111, v114, v111
	v_mul_f16_sdwa v95, v118, v95 dst_sel:DWORD dst_unused:UNUSED_PAD src0_sel:WORD_1 src1_sel:DWORD
	v_add_f16_e32 v105, v109, v105
	v_fma_f16 v109, v35, 0x3b15, -v117
	v_mov_b32_e32 v114, 0x3a95
	v_mul_f16_sdwa v96, v35, v96 dst_sel:DWORD dst_unused:UNUSED_PAD src0_sel:WORD_1 src1_sel:DWORD
	v_bfi_b32 v124, 0xffff, v113, v36
	v_fmamk_f16 v126, v35, 0x3b15, v117
	v_fmamk_f16 v117, v35, 0xb9fd, v95
	v_add_f16_e32 v97, v109, v97
	v_mul_f16_sdwa v109, v118, v114 dst_sel:DWORD dst_unused:UNUSED_PAD src0_sel:WORD_1 src1_sel:DWORD
	v_fmamk_f16 v114, v118, 0x394e, v96
	v_fma_f16 v95, v35, 0xb9fd, -v95
	v_fmac_f16_e32 v96, 0xb94e, v118
	v_mul_f16_sdwa v90, v35, v90 dst_sel:DWORD dst_unused:UNUSED_PAD src0_sel:WORD_1 src1_sel:DWORD
	v_pk_add_f16 v110, v124, v110
	v_add_f16_e32 v98, v117, v98
	v_fmamk_f16 v117, v35, 0x388b, v109
	v_add_f16_e32 v89, v95, v89
	v_add_f16_e32 v95, v96, v99
	v_fmamk_f16 v99, v118, 0xba95, v90
	v_fmac_f16_e32 v90, 0x3a95, v118
	v_mul_f16_sdwa v94, v35, v94 dst_sel:DWORD dst_unused:UNUSED_PAD src0_sel:WORD_1 src1_sel:DWORD
	v_pk_mul_f16 v87, 0xbbc4, v87 op_sel_hi:[0,1]
	s_barrier
	buffer_gl0_inv
	v_add_f16_e32 v103, v127, v103
	v_add_f16_e32 v96, v117, v100
	v_fma_f16 v100, v35, 0x388b, -v109
	v_mul_f16_sdwa v93, v118, v93 dst_sel:DWORD dst_unused:UNUSED_PAD src0_sel:WORD_1 src1_sel:DWORD
	v_add_f16_e32 v99, v99, v102
	v_add_f16_e32 v90, v90, v101
	v_fmamk_f16 v101, v118, 0x3b7b, v94
	v_pk_fma_f16 v102, 0xb3a8, v34, v87 op_sel:[0,0,1] op_sel_hi:[0,1,0]
	ds_write2_b32 v74, v88, v110 offset1:1
	v_pk_mul_f16 v88, 0x3b15, v115 op_sel_hi:[0,1]
	v_add_f16_e32 v104, v126, v104
	v_add_f16_e32 v107, v114, v107
	;; [unrolled: 1-line block ×3, first 2 shown]
	v_fmamk_f16 v100, v35, 0xb5ac, v93
	v_add_f16_e32 v101, v101, v103
	v_alignbit_b32 v103, s0, v102, 16
	v_pk_fma_f16 v34, 0xb3a8, v34, v87 op_sel:[0,0,1] op_sel_hi:[0,1,0] neg_lo:[0,1,0] neg_hi:[0,1,0]
	v_pk_fma_f16 v87, 0x3770, v112, v88 op_sel:[0,0,1] op_sel_hi:[0,1,0]
	v_pk_mul_f16 v42, 0xb9fd, v42 op_sel_hi:[0,1]
	v_pack_b32_f16 v104, v104, v105
	v_alignbit_b32 v105, s0, v33, 16
	v_add_f16_e32 v100, v100, v106
	v_pack_b32_f16 v98, v98, v107
	v_pk_add_f16 v103, v33, v103
	v_pk_add_f16 v34, v33, v34 op_sel:[1,0] op_sel_hi:[0,1]
	v_alignbit_b32 v106, s0, v87, 16
	v_pk_fma_f16 v88, 0x3770, v112, v88 op_sel:[0,0,1] op_sel_hi:[0,1,0] neg_lo:[0,1,0] neg_hi:[0,1,0]
	v_pk_fma_f16 v107, 0xb94e, v116, v42 op_sel:[0,0,1] op_sel_hi:[0,1,0]
	v_pk_mul_f16 v37, 0x388b, v37 op_sel_hi:[0,1]
	v_pk_add_f16 v102, v105, v102
	v_pk_add_f16 v103, v106, v103
	;; [unrolled: 1-line block ×3, first 2 shown]
	v_alignbit_b32 v88, s0, v107, 16
	v_pk_fma_f16 v42, 0xb94e, v116, v42 op_sel:[0,0,1] op_sel_hi:[0,1,0] neg_lo:[0,1,0] neg_hi:[0,1,0]
	v_pk_fma_f16 v105, 0x3a95, v120, v37 op_sel:[0,0,1] op_sel_hi:[0,1,0]
	v_pk_mul_f16 v38, 0xb5ac, v38 op_sel_hi:[0,1]
	v_pk_add_f16 v87, v87, v102
	v_bfi_b32 v85, 0xffff, v86, v85
	v_pk_add_f16 v88, v88, v103
	v_pk_add_f16 v34, v42, v34
	v_alignbit_b32 v42, s0, v105, 16
	v_pk_fma_f16 v37, 0x3a95, v120, v37 op_sel:[0,0,1] op_sel_hi:[0,1,0] neg_lo:[0,1,0] neg_hi:[0,1,0]
	v_pk_fma_f16 v102, 0xbb7b, v123, v38 op_sel:[0,0,1] op_sel_hi:[0,1,0]
	v_pk_add_f16 v87, v107, v87
	v_pk_add_f16 v33, v33, v85
	v_bfi_b32 v41, 0xffff, v44, v41
	v_fma_f16 v93, v35, 0xb5ac, -v93
	v_pk_add_f16 v42, v42, v88
	v_pk_add_f16 v34, v37, v34
	v_alignbit_b32 v37, s0, v102, 16
	v_pk_mul_f16 v35, 0x2fb7, v35 op_sel_hi:[0,1]
	v_pk_add_f16 v44, v105, v87
	v_pk_fma_f16 v38, 0xbb7b, v123, v38 op_sel:[0,0,1] op_sel_hi:[0,1,0] neg_lo:[0,1,0] neg_hi:[0,1,0]
	v_pk_add_f16 v33, v41, v33
	v_bfi_b32 v41, 0xffff, v43, v121
	v_pk_add_f16 v37, v37, v42
	v_pk_fma_f16 v42, 0x3bf1, v118, v35 op_sel:[0,0,1] op_sel_hi:[0,1,0]
	v_pk_add_f16 v34, v38, v34
	v_pk_add_f16 v38, v102, v44
	v_pk_fma_f16 v35, 0x3bf1, v118, v35 op_sel:[0,0,1] op_sel_hi:[0,1,0] neg_lo:[0,1,0] neg_hi:[0,1,0]
	v_pk_add_f16 v33, v41, v33
	v_bfi_b32 v40, 0xffff, v40, v125
	v_alignbit_b32 v43, s0, v42, 16
	v_fmac_f16_e32 v94, 0xbb7b, v118
	v_fmac_f16_e32 v122, 0x3770, v118
	v_pk_add_f16 v34, v35, v34
	v_pk_add_f16 v35, v42, v38
	v_pk_add_f16 v33, v40, v33
	v_bfi_b32 v38, 0xffff, v39, v119
	v_pk_add_f16 v37, v43, v37
	v_add_f16_e32 v93, v93, v108
	v_add_f16_e32 v94, v94, v111
	;; [unrolled: 1-line block ×3, first 2 shown]
	v_pk_add_f16 v33, v38, v33
	v_bfi_b32 v36, 0xffff, v36, v113
	v_add_nc_u32_e32 v31, 0xd0, v46
	v_pack_b32_f16 v39, v100, v101
	v_pack_b32_f16 v40, v96, v99
	v_alignbit_b32 v35, v35, v34, 16
	v_pack_b32_f16 v34, v37, v34
	v_pack_b32_f16 v37, v91, v90
	;; [unrolled: 1-line block ×5, first 2 shown]
	v_pk_add_f16 v33, v36, v33
	ds_write2_b32 v74, v104, v98 offset0:2 offset1:3
	ds_write2_b32 v74, v40, v39 offset0:4 offset1:5
	;; [unrolled: 1-line block ×5, first 2 shown]
	ds_write_b32 v74, v33 offset:48
	s_and_saveexec_b32 s0, vcc_lo
	s_cbranch_execz .LBB0_13
; %bb.12:
	v_add_f16_sdwa v88, v76, v84 dst_sel:DWORD dst_unused:UNUSED_PAD src0_sel:WORD_1 src1_sel:DWORD
	v_sub_f16_e32 v37, v30, v68
	v_add_f16_e32 v89, v69, v71
	v_sub_f16_e32 v34, v13, v12
	v_add_f16_e32 v90, v70, v72
	v_mul_f16_e32 v91, 0xbbc4, v88
	v_sub_f16_e32 v35, v14, v11
	v_mul_f16_e32 v93, 0x3b15, v89
	v_add_f16_e32 v92, v75, v73
	v_mul_f16_e32 v95, 0xb9fd, v90
	v_fmamk_f16 v38, v37, 0x33a8, v91
	v_sub_f16_sdwa v96, v84, v76 dst_sel:DWORD dst_unused:UNUSED_PAD src0_sel:DWORD src1_sel:WORD_1
	v_fmamk_f16 v39, v34, 0xb770, v93
	v_sub_f16_e32 v33, v17, v16
	v_mul_f16_e32 v97, 0x388b, v92
	v_add_f16_e32 v40, v83, v38
	v_add_f16_e32 v38, v68, v30
	v_fmamk_f16 v41, v35, 0x394e, v95
	v_mul_f16_e32 v98, 0xb3a8, v96
	v_sub_f16_e32 v99, v71, v69
	v_add_f16_e32 v40, v39, v40
	v_add_f16_e32 v39, v12, v13
	v_fmamk_f16 v42, v33, 0xba95, v97
	v_sub_f16_e32 v101, v72, v70
	v_mul_f16_e32 v100, 0x3770, v99
	v_add_f16_e32 v40, v41, v40
	v_fmamk_f16 v41, v38, 0xbbc4, v98
	v_sub_f16_e32 v104, v73, v75
	v_mul_f16_e32 v103, 0xb94e, v101
	v_fmamk_f16 v43, v39, 0x3b15, v100
	v_add_f16_e32 v42, v42, v40
	v_add_f16_e32 v41, v29, v41
	v_add_f16_e32 v40, v11, v14
	v_add_f16_e32 v94, v77, v79
	v_mul_f16_e32 v106, 0x3a95, v104
	v_sub_f16_e32 v108, v79, v77
	v_add_f16_e32 v44, v43, v41
	v_fmamk_f16 v85, v40, 0xb9fd, v103
	v_add_f16_e32 v43, v16, v17
	v_sub_f16_e32 v36, v18, v15
	v_mul_f16_e32 v102, 0xb5ac, v94
	v_add_f16_e32 v105, v80, v78
	v_add_f16_e32 v85, v85, v44
	v_fmamk_f16 v86, v43, 0x388b, v106
	v_add_f16_e32 v44, v15, v18
	v_mul_f16_e32 v109, 0xbb7b, v108
	v_mul_f16_e32 v110, 0xb9fd, v88
	v_fmamk_f16 v74, v36, 0x3b7b, v102
	v_mul_f16_e32 v107, 0x2fb7, v105
	v_sub_f16_e32 v41, v76, v32
	v_add_f16_e32 v85, v86, v85
	v_fmamk_f16 v86, v44, 0xb5ac, v109
	v_fmamk_f16 v87, v37, 0x394e, v110
	v_mul_f16_e32 v111, 0x2fb7, v89
	v_add_f16_e32 v42, v74, v42
	v_fmamk_f16 v74, v41, 0xbbf1, v107
	v_add_f16_e32 v85, v86, v85
	v_sub_f16_e32 v112, v78, v80
	v_add_f16_e32 v86, v83, v87
	v_fmamk_f16 v87, v34, 0xbbf1, v111
	v_mul_f16_e32 v113, 0x388b, v90
	v_mul_f16_e32 v115, 0xb94e, v96
	v_add_f16_e32 v42, v74, v42
	v_add_f16_e32 v74, v32, v76
	v_mul_f16_e32 v114, 0x3bf1, v112
	v_add_f16_e32 v86, v87, v86
	v_fmamk_f16 v87, v35, 0x3a95, v113
	v_mul_f16_e32 v116, 0xbbc4, v92
	v_fmamk_f16 v118, v38, 0xb9fd, v115
	v_mul_f16_e32 v119, 0x3bf1, v99
	v_fmamk_f16 v117, v74, 0x2fb7, v114
	v_add_f16_e32 v86, v87, v86
	v_fmamk_f16 v87, v33, 0xb3a8, v116
	v_mul_f16_e32 v120, 0x3b15, v94
	v_add_f16_e32 v118, v29, v118
	v_fmamk_f16 v121, v39, 0x2fb7, v119
	v_mul_f16_e32 v122, 0xba95, v101
	v_add_f16_e32 v86, v87, v86
	v_fmamk_f16 v87, v36, 0xb770, v120
	v_add_f16_e32 v85, v117, v85
	v_add_f16_e32 v117, v121, v118
	v_fmamk_f16 v118, v40, 0x388b, v122
	v_mul_f16_e32 v121, 0x33a8, v104
	v_add_f16_e32 v86, v87, v86
	v_mul_f16_e32 v129, 0xbb7b, v96
	v_mul_f16_e32 v133, 0x394e, v99
	v_add_f16_e32 v87, v118, v117
	v_fmamk_f16 v117, v43, 0xbbc4, v121
	v_mul_f16_e32 v118, 0x3770, v108
	v_fmamk_f16 v132, v38, 0xb5ac, v129
	v_mul_f16_e32 v123, 0xb5ac, v105
	v_mul_f16_e32 v124, 0xb5ac, v88
	v_add_f16_e32 v87, v117, v87
	v_fmamk_f16 v117, v44, 0x3b15, v118
	v_add_f16_e32 v132, v29, v132
	v_fmamk_f16 v135, v39, 0xb9fd, v133
	v_mul_f16_e32 v136, 0x3770, v101
	v_fmamk_f16 v125, v41, 0x3b7b, v123
	v_add_f16_e32 v87, v117, v87
	v_mul_f16_e32 v117, 0xbb7b, v112
	v_fmamk_f16 v126, v37, 0x3b7b, v124
	v_mul_f16_e32 v127, 0xb9fd, v89
	v_add_f16_e32 v86, v125, v86
	v_mul_f16_e32 v128, 0x3b15, v90
	v_fmamk_f16 v131, v74, 0xb5ac, v117
	v_add_f16_e32 v125, v83, v126
	v_fmamk_f16 v126, v34, 0xb94e, v127
	v_mul_f16_e32 v138, 0x33a8, v108
	v_mul_f16_e32 v130, 0x2fb7, v92
	v_add_f16_e32 v87, v131, v87
	v_add_f16_e32 v131, v135, v132
	v_fmamk_f16 v132, v40, 0x3b15, v136
	v_mul_f16_e32 v135, 0xbbf1, v104
	v_add_f16_e32 v125, v126, v125
	v_fmamk_f16 v126, v35, 0xb770, v128
	v_mul_f16_e32 v143, 0xbbf1, v96
	;; [unrolled: 3-line block ×3, first 2 shown]
	v_add_f16_e32 v125, v126, v125
	v_fmamk_f16 v126, v33, 0x3bf1, v130
	v_fmamk_f16 v146, v38, 0x2fb7, v143
	v_add_f16_e32 v131, v132, v131
	v_fmamk_f16 v132, v44, 0xbbc4, v138
	v_mul_f16_e32 v147, 0xb3a8, v99
	v_add_f16_e32 v125, v126, v125
	v_fmamk_f16 v126, v36, 0xb3a8, v134
	v_add_f16_e32 v146, v29, v146
	v_add_f16_e32 v131, v132, v131
	v_mul_f16_e32 v132, 0x3a95, v112
	v_fmamk_f16 v149, v39, 0xbbc4, v147
	v_mul_f16_e32 v150, 0x3b7b, v101
	v_add_f16_e32 v125, v126, v125
	v_mul_f16_e32 v126, 0x388b, v105
	v_fmamk_f16 v145, v74, 0x388b, v132
	v_mul_f16_e32 v137, 0x2fb7, v88
	v_mul_f16_e32 v141, 0xbbc4, v89
	;; [unrolled: 1-line block ×3, first 2 shown]
	v_fmamk_f16 v139, v41, 0xba95, v126
	v_add_f16_e32 v131, v145, v131
	v_add_f16_e32 v145, v149, v146
	v_fmamk_f16 v146, v40, 0xb5ac, v150
	v_mul_f16_e32 v149, 0x3770, v104
	v_fmamk_f16 v140, v37, 0x3bf1, v137
	v_add_f16_e32 v125, v139, v125
	v_mul_f16_e32 v142, 0xb5ac, v90
	v_add_f16_e32 v145, v146, v145
	v_fmamk_f16 v146, v43, 0x3b15, v149
	v_add_f16_e32 v139, v83, v140
	v_fmamk_f16 v140, v34, 0x33a8, v141
	v_add_f16_e32 v30, v30, v29
	v_add_f16_e32 v84, v84, v83
	;; [unrolled: 1-line block ×3, first 2 shown]
	v_fmamk_f16 v146, v44, 0x388b, v152
	v_add_f16_e32 v139, v140, v139
	v_fmamk_f16 v140, v35, 0xbb7b, v142
	v_mul_f16_e32 v144, 0x3b15, v92
	v_add_f16_e32 v13, v13, v30
	v_add_f16_e32 v145, v146, v145
	v_mul_f16_e32 v146, 0xba95, v96
	v_add_f16_e32 v71, v71, v84
	v_add_f16_e32 v139, v140, v139
	v_fmamk_f16 v140, v33, 0xb770, v144
	v_mul_f16_e32 v148, 0x388b, v94
	v_fmamk_f16 v159, v38, 0x388b, v146
	v_mul_f16_e32 v160, 0xbb7b, v99
	v_add_f16_e32 v13, v14, v13
	v_add_f16_e32 v71, v72, v71
	;; [unrolled: 1-line block ×3, first 2 shown]
	v_fmamk_f16 v140, v36, 0x3a95, v148
	v_add_f16_e32 v159, v29, v159
	v_fmamk_f16 v162, v39, 0xb5ac, v160
	v_mul_f16_e32 v163, 0xb3a8, v101
	v_mul_f16_e32 v96, 0xb770, v96
	v_add_f16_e32 v13, v17, v13
	v_add_f16_e32 v71, v73, v71
	;; [unrolled: 1-line block ×3, first 2 shown]
	v_mul_f16_e32 v140, 0x388b, v88
	v_add_f16_e32 v159, v162, v159
	v_fmamk_f16 v162, v40, 0xbbc4, v163
	v_mul_f16_e32 v165, 0x394e, v104
	v_mul_f16_e32 v88, 0x3b15, v88
	v_fmamk_f16 v72, v38, 0x3b15, v96
	v_mul_f16_e32 v17, 0xba95, v99
	v_add_f16_e32 v13, v18, v13
	v_add_f16_e32 v71, v79, v71
	v_fmamk_f16 v153, v37, 0x3a95, v140
	v_mul_f16_e32 v154, 0xb5ac, v89
	v_mul_f16_e32 v158, 0xb94e, v112
	v_add_f16_e32 v159, v162, v159
	v_fmamk_f16 v162, v43, 0xb9fd, v165
	v_mul_f16_e32 v166, 0x3bf1, v108
	v_fmamk_f16 v167, v37, 0x3770, v88
	v_mul_f16_e32 v89, 0x388b, v89
	v_add_f16_e32 v72, v29, v72
	v_fmamk_f16 v18, v39, 0x388b, v17
	v_mul_f16_e32 v79, 0xbbf1, v101
	v_add_f16_e32 v13, v76, v13
	v_add_f16_e32 v71, v78, v71
	;; [unrolled: 1-line block ×3, first 2 shown]
	v_fmamk_f16 v156, v34, 0x3b7b, v154
	v_mul_f16_e32 v157, 0xbbc4, v90
	v_fmamk_f16 v164, v74, 0xb9fd, v158
	v_add_f16_e32 v159, v162, v159
	v_fmamk_f16 v162, v44, 0x2fb7, v166
	v_add_f16_e32 v167, v83, v167
	v_fmamk_f16 v169, v34, 0x3a95, v89
	v_mul_f16_e32 v90, 0x2fb7, v90
	v_add_f16_e32 v18, v18, v72
	v_fmamk_f16 v72, v40, 0x2fb7, v79
	v_mul_f16_e32 v78, 0xbb7b, v104
	v_add_f16_e32 v13, v32, v13
	v_add_f16_e32 v32, v80, v71
	;; [unrolled: 1-line block ×3, first 2 shown]
	v_mul_f16_e32 v156, 0xb9fd, v92
	v_add_f16_e32 v145, v164, v145
	v_add_f16_e32 v159, v162, v159
	;; [unrolled: 1-line block ×3, first 2 shown]
	v_fmamk_f16 v164, v35, 0x3bf1, v90
	v_mul_f16_e32 v92, 0xb5ac, v92
	v_add_f16_e32 v18, v72, v18
	v_fmamk_f16 v71, v43, 0xb5ac, v78
	v_add_f16_e32 v13, v15, v13
	v_mul_f16_e32 v15, 0xb94e, v108
	v_add_f16_e32 v32, v77, v32
	v_add_f16_e32 v30, v164, v162
	v_fmamk_f16 v84, v33, 0x3b7b, v92
	v_mul_f16_e32 v73, 0xb9fd, v94
	v_add_f16_e32 v18, v71, v18
	v_add_f16_e32 v13, v16, v13
	v_fmamk_f16 v16, v44, 0xb9fd, v15
	v_add_f16_e32 v32, v75, v32
	v_mul_f16_e32 v71, 0xb3a8, v112
	v_add_f16_e32 v30, v84, v30
	v_fmamk_f16 v84, v36, 0x394e, v73
	v_mul_f16_e32 v72, 0xbbc4, v105
	v_add_f16_e32 v11, v11, v13
	v_add_f16_e32 v13, v16, v18
	;; [unrolled: 1-line block ×3, first 2 shown]
	v_fmamk_f16 v18, v74, 0xbbc4, v71
	v_add_f16_e32 v30, v84, v30
	v_fmamk_f16 v75, v41, 0x33a8, v72
	v_add_f16_e32 v11, v12, v11
	v_add_f16_e32 v16, v69, v16
	v_add_f16_e32 v13, v18, v13
	v_fma_f16 v18, v38, 0xbbc4, -v98
	v_fmac_f16_e32 v110, 0xb94e, v37
	v_fma_f16 v69, v38, 0xb9fd, -v115
	v_fmac_f16_e32 v124, 0xbb7b, v37
	v_add_f16_e32 v12, v75, v30
	v_add_f16_e32 v11, v68, v11
	;; [unrolled: 1-line block ×3, first 2 shown]
	v_fma_f16 v32, v39, 0x3b15, -v100
	v_add_f16_e32 v68, v83, v110
	v_fmac_f16_e32 v111, 0x3bf1, v34
	v_add_f16_e32 v69, v29, v69
	v_fma_f16 v70, v39, 0x2fb7, -v119
	v_add_f16_e32 v75, v83, v124
	v_fmac_f16_e32 v127, 0x394e, v34
	v_add_f16_e32 v18, v32, v18
	v_fma_f16 v32, v40, 0xb9fd, -v103
	v_add_f16_e32 v68, v111, v68
	v_fmac_f16_e32 v113, 0xba95, v35
	v_add_f16_e32 v69, v70, v69
	v_fma_f16 v70, v40, 0x388b, -v122
	v_add_f16_e32 v75, v127, v75
	v_fmac_f16_e32 v128, 0x3770, v35
	v_add_f16_e32 v18, v32, v18
	v_fma_f16 v32, v43, 0x388b, -v106
	v_add_f16_e32 v68, v113, v68
	v_fmac_f16_e32 v116, 0x33a8, v33
	v_add_f16_e32 v69, v70, v69
	v_fma_f16 v70, v43, 0xbbc4, -v121
	v_add_f16_e32 v75, v128, v75
	v_fmac_f16_e32 v130, 0xbbf1, v33
	v_add_f16_e32 v18, v32, v18
	v_fma_f16 v32, v44, 0xb5ac, -v109
	v_add_f16_e32 v68, v116, v68
	v_fmac_f16_e32 v120, 0x3770, v36
	v_add_f16_e32 v69, v70, v69
	v_fma_f16 v70, v44, 0x3b15, -v118
	v_add_f16_e32 v75, v130, v75
	v_fmac_f16_e32 v134, 0x33a8, v36
	v_mul_f16_e32 v151, 0xb9fd, v105
	v_add_f16_e32 v18, v32, v18
	v_fma_f16 v32, v74, 0x2fb7, -v114
	v_add_f16_e32 v68, v120, v68
	v_fmac_f16_e32 v123, 0xbb7b, v41
	v_add_f16_e32 v69, v70, v69
	v_fma_f16 v70, v74, 0xb5ac, -v117
	v_add_f16_e32 v75, v134, v75
	v_fmac_f16_e32 v126, 0x3a95, v41
	v_fmamk_f16 v155, v41, 0x394e, v151
	v_add_f16_e32 v18, v32, v18
	v_add_f16_e32 v32, v123, v68
	v_fma_f16 v68, v38, 0xb5ac, -v129
	v_add_f16_e32 v69, v70, v69
	v_add_f16_e32 v70, v126, v75
	v_fma_f16 v75, v38, 0x2fb7, -v143
	v_fmac_f16_e32 v140, 0xba95, v37
	v_add_f16_e32 v139, v155, v139
	v_fmamk_f16 v155, v35, 0x33a8, v157
	v_add_f16_sdwa v16, v76, v16 dst_sel:DWORD dst_unused:UNUSED_PAD src0_sel:WORD_1 src1_sel:DWORD
	v_add_f16_e32 v68, v29, v68
	v_fma_f16 v76, v39, 0xb9fd, -v133
	v_add_f16_e32 v75, v29, v75
	v_fma_f16 v77, v39, 0xbbc4, -v147
	v_add_f16_e32 v80, v83, v140
	v_fmac_f16_e32 v154, 0xbb7b, v34
	v_add_f16_e32 v153, v155, v153
	v_fmamk_f16 v155, v33, 0xb94e, v156
	v_mul_f16_e32 v161, 0x2fb7, v94
	v_add_f16_e32 v68, v76, v68
	v_fma_f16 v76, v40, 0x3b15, -v136
	v_add_f16_e32 v75, v77, v75
	v_fma_f16 v77, v40, 0xb5ac, -v150
	v_add_f16_e32 v80, v154, v80
	v_fmac_f16_e32 v157, 0xb3a8, v35
	v_add_f16_e32 v153, v155, v153
	v_fmamk_f16 v155, v36, 0xbbf1, v161
	v_add_f16_e32 v68, v76, v68
	v_fma_f16 v76, v43, 0x2fb7, -v135
	v_add_f16_e32 v75, v77, v75
	v_fma_f16 v77, v43, 0x3b15, -v149
	v_add_f16_e32 v80, v157, v80
	v_fmac_f16_e32 v156, 0x394e, v33
	v_add_f16_e32 v153, v155, v153
	v_mul_f16_e32 v155, 0x3b15, v105
	v_add_f16_e32 v68, v76, v68
	v_fma_f16 v76, v44, 0xbbc4, -v138
	v_add_f16_e32 v75, v77, v75
	v_fma_f16 v77, v44, 0x388b, -v152
	v_add_f16_e32 v80, v156, v80
	v_fmac_f16_e32 v161, 0x3bf1, v36
	v_fmac_f16_e32 v91, 0xb3a8, v37
	v_fmamk_f16 v168, v41, 0xb770, v155
	v_add_f16_e32 v68, v76, v68
	v_fma_f16 v76, v74, 0x388b, -v132
	v_fmac_f16_e32 v137, 0xbbf1, v37
	v_add_f16_e32 v75, v77, v75
	v_fma_f16 v77, v74, 0xb9fd, -v158
	v_add_f16_e32 v80, v161, v80
	v_fmac_f16_e32 v155, 0x3770, v41
	v_fma_f16 v84, v38, 0x388b, -v146
	v_fmac_f16_e32 v88, 0xb770, v37
	v_fma_f16 v38, v38, 0x3b15, -v96
	v_add_f16_e32 v30, v83, v91
	v_fmac_f16_e32 v93, 0x3770, v34
	v_add_f16_e32 v68, v76, v68
	v_add_f16_e32 v76, v83, v137
	v_fmac_f16_e32 v141, 0xb3a8, v34
	v_add_f16_e32 v75, v77, v75
	v_add_f16_e32 v37, v155, v80
	;; [unrolled: 1-line block ×3, first 2 shown]
	v_fma_f16 v80, v39, 0xb5ac, -v160
	v_add_f16_e32 v83, v83, v88
	v_fmac_f16_e32 v89, 0xba95, v34
	v_add_f16_e32 v29, v29, v38
	v_fma_f16 v17, v39, 0x388b, -v17
	v_add_f16_e32 v30, v93, v30
	v_fmac_f16_e32 v95, 0xb94e, v35
	v_add_f16_e32 v76, v141, v76
	v_fmac_f16_e32 v142, 0x3b7b, v35
	v_add_f16_e32 v34, v80, v77
	v_fma_f16 v38, v40, 0xbbc4, -v163
	v_add_f16_e32 v39, v89, v83
	v_fmac_f16_e32 v90, 0xbbf1, v35
	v_add_f16_e32 v17, v17, v29
	v_fma_f16 v29, v40, 0x2fb7, -v79
	v_mul_f16_e32 v167, 0x3770, v112
	v_add_f16_e32 v30, v95, v30
	v_fmac_f16_e32 v97, 0x3a95, v33
	v_add_f16_e32 v76, v142, v76
	v_fmac_f16_e32 v144, 0x3770, v33
	v_add_f16_e32 v34, v38, v34
	v_fma_f16 v35, v43, 0xb9fd, -v165
	v_add_f16_e32 v38, v90, v39
	v_fmac_f16_e32 v92, 0xbb7b, v33
	v_add_f16_e32 v17, v29, v17
	v_fma_f16 v29, v43, 0xb5ac, -v78
	v_fmamk_f16 v14, v74, 0x3b15, v167
	v_add_f16_e32 v30, v97, v30
	v_fmac_f16_e32 v102, 0xbb7b, v36
	v_add_f16_e32 v76, v144, v76
	v_fmac_f16_e32 v148, 0xba95, v36
	v_add_f16_e32 v33, v35, v34
	v_fma_f16 v34, v44, 0x2fb7, -v166
	v_add_f16_e32 v35, v92, v38
	v_fmac_f16_e32 v73, 0xb94e, v36
	v_add_f16_e32 v17, v29, v17
	v_fma_f16 v15, v44, 0xb9fd, -v15
	v_add_f16_e32 v153, v168, v153
	v_add_f16_e32 v14, v14, v159
	;; [unrolled: 1-line block ×3, first 2 shown]
	v_fmac_f16_e32 v107, 0x3bf1, v41
	v_add_f16_e32 v76, v148, v76
	v_fmac_f16_e32 v151, 0xb94e, v41
	v_add_f16_e32 v29, v34, v33
	v_fma_f16 v33, v74, 0x3b15, -v167
	v_add_f16_e32 v34, v73, v35
	v_fmac_f16_e32 v72, 0xb3a8, v41
	v_add_f16_e32 v15, v15, v17
	v_fma_f16 v17, v74, 0xbbc4, -v71
	v_lshl_add_u32 v35, v81, 2, v66
	v_pack_b32_f16 v12, v13, v12
	v_pack_b32_f16 v11, v11, v16
	v_add_f16_e32 v30, v107, v30
	v_pack_b32_f16 v13, v145, v139
	v_pack_b32_f16 v14, v14, v153
	v_add_f16_e32 v76, v151, v76
	v_add_f16_e32 v16, v33, v29
	;; [unrolled: 1-line block ×4, first 2 shown]
	ds_write2_b32 v35, v11, v12 offset1:1
	ds_write2_b32 v35, v14, v13 offset0:2 offset1:3
	v_pack_b32_f16 v11, v87, v86
	v_pack_b32_f16 v12, v131, v125
	;; [unrolled: 1-line block ×9, first 2 shown]
	ds_write2_b32 v35, v12, v11 offset0:4 offset1:5
	ds_write2_b32 v35, v14, v13 offset0:6 offset1:7
	;; [unrolled: 1-line block ×4, first 2 shown]
	ds_write_b32 v35, v15 offset:48
.LBB0_13:
	s_or_b32 exec_lo, exec_lo, s0
	s_waitcnt lgkmcnt(0)
	s_barrier
	buffer_gl0_inv
	ds_read2_b32 v[11:12], v46 offset1:13
	ds_read2_b32 v[13:14], v46 offset0:26 offset1:39
	ds_read2_b32 v[15:16], v46 offset0:78 offset1:91
	;; [unrolled: 1-line block ×6, first 2 shown]
	ds_read_b32 v36, v46 offset:728
	s_waitcnt lgkmcnt(0)
	s_barrier
	buffer_gl0_inv
	s_mov_b32 s4, 0x15015015
	s_mov_b32 s5, 0x3f750150
	s_mul_hi_u32 s3, s8, 60
	v_lshrrev_b32_e32 v37, 16, v11
	v_lshrrev_b32_e32 v38, 16, v14
	;; [unrolled: 1-line block ×4, first 2 shown]
	v_mul_f16_sdwa v75, v4, v14 dst_sel:DWORD dst_unused:UNUSED_PAD src0_sel:WORD_1 src1_sel:DWORD
	v_lshrrev_b32_e32 v43, 16, v32
	v_mul_f16_sdwa v74, v4, v38 dst_sel:DWORD dst_unused:UNUSED_PAD src0_sel:WORD_1 src1_sel:DWORD
	v_lshrrev_b32_e32 v41, 16, v29
	v_lshrrev_b32_e32 v44, 16, v16
	v_mul_f16_sdwa v76, v5, v39 dst_sel:DWORD dst_unused:UNUSED_PAD src0_sel:WORD_1 src1_sel:DWORD
	v_mul_f16_sdwa v77, v5, v15 dst_sel:DWORD dst_unused:UNUSED_PAD src0_sel:WORD_1 src1_sel:DWORD
	;; [unrolled: 1-line block ×3, first 2 shown]
	v_fmac_f16_e32 v74, v4, v14
	v_fma_f16 v14, v4, v38, -v75
	v_mul_f16_sdwa v75, v4, v43 dst_sel:DWORD dst_unused:UNUSED_PAD src0_sel:WORD_1 src1_sel:DWORD
	v_lshrrev_b32_e32 v66, 16, v34
	v_lshrrev_b32_e32 v68, 16, v30
	v_fmac_f16_e32 v76, v5, v15
	v_fma_f16 v15, v5, v39, -v77
	v_fmac_f16_e32 v78, v6, v18
	v_mul_f16_sdwa v18, v6, v18 dst_sel:DWORD dst_unused:UNUSED_PAD src0_sel:WORD_1 src1_sel:DWORD
	v_mul_f16_sdwa v38, v7, v41 dst_sel:DWORD dst_unused:UNUSED_PAD src0_sel:WORD_1 src1_sel:DWORD
	;; [unrolled: 1-line block ×4, first 2 shown]
	v_fmac_f16_e32 v75, v4, v32
	v_mul_f16_sdwa v32, v5, v44 dst_sel:DWORD dst_unused:UNUSED_PAD src0_sel:WORD_1 src1_sel:DWORD
	v_lshrrev_b32_e32 v70, 16, v33
	v_lshrrev_b32_e32 v71, 16, v17
	v_fma_f16 v18, v6, v40, -v18
	v_fmac_f16_e32 v38, v7, v29
	v_fma_f16 v29, v7, v41, -v39
	v_fma_f16 v4, v4, v43, -v77
	v_mul_f16_sdwa v39, v5, v16 dst_sel:DWORD dst_unused:UNUSED_PAD src0_sel:WORD_1 src1_sel:DWORD
	v_mul_f16_sdwa v40, v6, v66 dst_sel:DWORD dst_unused:UNUSED_PAD src0_sel:WORD_1 src1_sel:DWORD
	;; [unrolled: 1-line block ×4, first 2 shown]
	v_fmac_f16_e32 v32, v5, v16
	v_mul_f16_sdwa v16, v7, v30 dst_sel:DWORD dst_unused:UNUSED_PAD src0_sel:WORD_1 src1_sel:DWORD
	v_lshrrev_b32_e32 v72, 16, v35
	v_fma_f16 v5, v5, v44, -v39
	v_fmac_f16_e32 v40, v6, v34
	v_fma_f16 v6, v6, v66, -v41
	v_fmac_f16_e32 v43, v7, v30
	v_mul_f16_sdwa v30, v0, v70 dst_sel:DWORD dst_unused:UNUSED_PAD src0_sel:WORD_1 src1_sel:DWORD
	v_mul_f16_sdwa v39, v1, v71 dst_sel:DWORD dst_unused:UNUSED_PAD src0_sel:WORD_1 src1_sel:DWORD
	;; [unrolled: 1-line block ×3, first 2 shown]
	v_fma_f16 v7, v7, v68, -v16
	v_add_f16_e32 v16, v76, v78
	v_lshrrev_b32_e32 v73, 16, v36
	v_mul_f16_sdwa v34, v0, v33 dst_sel:DWORD dst_unused:UNUSED_PAD src0_sel:WORD_1 src1_sel:DWORD
	v_fmac_f16_e32 v30, v0, v33
	v_fmac_f16_e32 v39, v1, v17
	v_fma_f16 v1, v1, v71, -v41
	v_mul_f16_sdwa v17, v2, v72 dst_sel:DWORD dst_unused:UNUSED_PAD src0_sel:WORD_1 src1_sel:DWORD
	v_mul_f16_sdwa v33, v2, v35 dst_sel:DWORD dst_unused:UNUSED_PAD src0_sel:WORD_1 src1_sel:DWORD
	v_add_f16_e32 v41, v11, v74
	v_fma_f16 v16, -0.5, v16, v11
	v_sub_f16_e32 v44, v14, v29
	v_fma_f16 v0, v0, v70, -v34
	v_mul_f16_sdwa v34, v3, v73 dst_sel:DWORD dst_unused:UNUSED_PAD src0_sel:WORD_1 src1_sel:DWORD
	v_fmac_f16_e32 v17, v2, v35
	v_fma_f16 v2, v2, v72, -v33
	v_add_f16_e32 v33, v41, v76
	v_fmamk_f16 v35, v44, 0xbb9c, v16
	v_sub_f16_e32 v41, v15, v18
	v_sub_f16_e32 v66, v74, v76
	;; [unrolled: 1-line block ×3, first 2 shown]
	v_add_f16_e32 v70, v74, v38
	v_fmac_f16_e32 v16, 0x3b9c, v44
	v_fmac_f16_e32 v34, v3, v36
	v_mul_f16_sdwa v36, v3, v36 dst_sel:DWORD dst_unused:UNUSED_PAD src0_sel:WORD_1 src1_sel:DWORD
	v_add_f16_e32 v33, v33, v78
	v_fmac_f16_e32 v35, 0xb8b4, v41
	v_add_f16_e32 v66, v66, v68
	v_fma_f16 v11, -0.5, v70, v11
	v_sub_f16_e32 v68, v76, v74
	v_sub_f16_e32 v70, v78, v38
	v_fmac_f16_e32 v16, 0x38b4, v41
	v_add_f16_e32 v71, v37, v14
	v_add_f16_e32 v72, v15, v18
	v_fma_f16 v3, v3, v73, -v36
	v_add_f16_e32 v33, v33, v38
	v_fmac_f16_e32 v35, 0x34f2, v66
	v_fmamk_f16 v36, v41, 0x3b9c, v11
	v_add_f16_e32 v68, v68, v70
	v_fmac_f16_e32 v11, 0xbb9c, v41
	v_add_f16_e32 v41, v71, v15
	v_fma_f16 v70, -0.5, v72, v37
	v_sub_f16_e32 v38, v74, v38
	v_fmac_f16_e32 v16, 0x34f2, v66
	v_add_f16_e32 v66, v14, v29
	v_sub_f16_e32 v72, v14, v15
	v_sub_f16_e32 v14, v15, v14
	;; [unrolled: 1-line block ×3, first 2 shown]
	v_fmac_f16_e32 v36, 0xb8b4, v44
	v_fmac_f16_e32 v11, 0x38b4, v44
	v_add_f16_e32 v41, v41, v18
	v_fmamk_f16 v44, v38, 0x3b9c, v70
	v_sub_f16_e32 v71, v76, v78
	v_sub_f16_e32 v73, v29, v18
	v_fmac_f16_e32 v37, -0.5, v66
	v_fmac_f16_e32 v70, 0xbb9c, v38
	v_add_f16_e32 v18, v32, v40
	v_add_f16_e32 v14, v14, v15
	;; [unrolled: 1-line block ×3, first 2 shown]
	v_lshrrev_b32_e32 v42, 16, v12
	v_fmac_f16_e32 v36, 0x34f2, v68
	v_fmac_f16_e32 v11, 0x34f2, v68
	v_add_f16_e32 v41, v41, v29
	v_fmac_f16_e32 v44, 0x38b4, v71
	v_add_f16_e32 v66, v72, v73
	v_fmamk_f16 v68, v71, 0xbb9c, v37
	v_fmac_f16_e32 v70, 0xb8b4, v71
	v_fma_f16 v18, -0.5, v18, v12
	v_sub_f16_e32 v29, v4, v7
	v_fmac_f16_e32 v37, 0x3b9c, v71
	v_add_f16_e32 v15, v15, v32
	v_add_f16_e32 v74, v75, v43
	v_fmac_f16_e32 v44, 0x34f2, v66
	v_fmac_f16_e32 v68, 0x38b4, v38
	;; [unrolled: 1-line block ×3, first 2 shown]
	v_fmamk_f16 v66, v29, 0xbb9c, v18
	v_sub_f16_e32 v71, v5, v6
	v_sub_f16_e32 v72, v75, v32
	;; [unrolled: 1-line block ×3, first 2 shown]
	v_fmac_f16_e32 v37, 0xb8b4, v38
	v_add_f16_e32 v15, v15, v40
	v_fmac_f16_e32 v12, -0.5, v74
	v_fmac_f16_e32 v18, 0x3b9c, v29
	v_add_f16_e32 v74, v42, v4
	v_fmac_f16_e32 v68, 0x34f2, v14
	v_fmac_f16_e32 v66, 0xb8b4, v71
	v_add_f16_e32 v38, v72, v73
	v_fmac_f16_e32 v37, 0x34f2, v14
	v_add_f16_e32 v14, v15, v43
	v_fmamk_f16 v15, v71, 0x3b9c, v12
	v_sub_f16_e32 v72, v32, v75
	v_sub_f16_e32 v73, v40, v43
	v_fmac_f16_e32 v18, 0x38b4, v71
	v_add_f16_e32 v76, v5, v6
	v_fmac_f16_e32 v12, 0xbb9c, v71
	v_add_f16_e32 v71, v74, v5
	;; [unrolled: 2-line block ×3, first 2 shown]
	v_fma_f16 v73, -0.5, v76, v42
	v_sub_f16_e32 v43, v75, v43
	v_fmac_f16_e32 v12, 0x38b4, v29
	v_add_f16_e32 v29, v71, v6
	v_add_f16_e32 v71, v4, v7
	v_fmac_f16_e32 v66, 0x34f2, v38
	v_fmac_f16_e32 v18, 0x34f2, v38
	v_fmamk_f16 v38, v43, 0x3b9c, v73
	v_sub_f16_e32 v32, v32, v40
	v_sub_f16_e32 v40, v4, v5
	;; [unrolled: 1-line block ×3, first 2 shown]
	v_fmac_f16_e32 v42, -0.5, v71
	v_fmac_f16_e32 v73, 0xbb9c, v43
	v_sub_f16_e32 v4, v5, v4
	v_sub_f16_e32 v5, v6, v7
	v_add_f16_e32 v6, v39, v17
	v_add_f16_e32 v29, v29, v7
	v_fmac_f16_e32 v38, 0x38b4, v32
	v_add_f16_e32 v40, v40, v74
	v_fmamk_f16 v71, v32, 0xbb9c, v42
	v_fmac_f16_e32 v73, 0xb8b4, v32
	v_add_f16_e32 v4, v4, v5
	v_fmac_f16_e32 v42, 0x3b9c, v32
	v_add_f16_e32 v5, v13, v30
	v_fma_f16 v6, -0.5, v6, v13
	v_sub_f16_e32 v7, v0, v3
	v_fmac_f16_e32 v15, 0x34f2, v72
	v_fmac_f16_e32 v12, 0x34f2, v72
	;; [unrolled: 1-line block ×6, first 2 shown]
	v_add_f16_e32 v5, v5, v39
	v_fmamk_f16 v32, v7, 0xbb9c, v6
	v_sub_f16_e32 v40, v1, v2
	v_sub_f16_e32 v43, v30, v39
	;; [unrolled: 1-line block ×3, first 2 shown]
	v_fmac_f16_e32 v6, 0x3b9c, v7
	v_add_f16_e32 v74, v30, v34
	v_lshrrev_b32_e32 v69, 16, v13
	v_add_f16_e32 v5, v5, v17
	v_fmac_f16_e32 v32, 0xb8b4, v40
	v_add_f16_e32 v43, v43, v72
	v_fmac_f16_e32 v6, 0x38b4, v40
	v_fmac_f16_e32 v13, -0.5, v74
	v_sub_f16_e32 v72, v39, v30
	v_sub_f16_e32 v74, v17, v34
	v_fmac_f16_e32 v71, 0x34f2, v4
	v_fmac_f16_e32 v42, 0x34f2, v4
	v_add_f16_e32 v4, v5, v34
	v_fmac_f16_e32 v32, 0x34f2, v43
	v_fmac_f16_e32 v6, 0x34f2, v43
	v_fmamk_f16 v5, v40, 0x3b9c, v13
	v_add_f16_e32 v43, v1, v2
	v_fmac_f16_e32 v13, 0xbb9c, v40
	v_sub_f16_e32 v30, v30, v34
	v_add_f16_e32 v34, v72, v74
	v_add_f16_e32 v72, v0, v3
	;; [unrolled: 1-line block ×3, first 2 shown]
	v_fma_f16 v43, -0.5, v43, v69
	v_fmac_f16_e32 v5, 0xb8b4, v7
	v_fmac_f16_e32 v13, 0x38b4, v7
	v_sub_f16_e32 v17, v39, v17
	v_fmac_f16_e32 v69, -0.5, v72
	v_add_f16_e32 v7, v40, v1
	v_fmamk_f16 v40, v30, 0x3b9c, v43
	v_fmac_f16_e32 v5, 0x34f2, v34
	v_fmac_f16_e32 v13, 0x34f2, v34
	v_sub_f16_e32 v34, v0, v1
	v_sub_f16_e32 v39, v3, v2
	v_fmac_f16_e32 v43, 0xbb9c, v30
	v_fmamk_f16 v72, v17, 0xbb9c, v69
	v_sub_f16_e32 v0, v1, v0
	v_sub_f16_e32 v1, v2, v3
	v_fmac_f16_e32 v69, 0x3b9c, v17
	v_add_f16_e32 v7, v7, v2
	v_fmac_f16_e32 v40, 0x38b4, v17
	v_add_f16_e32 v2, v34, v39
	v_fmac_f16_e32 v43, 0xb8b4, v17
	v_fmac_f16_e32 v72, 0x38b4, v30
	v_add_f16_e32 v0, v0, v1
	v_fmac_f16_e32 v69, 0xb8b4, v30
	v_fmac_f16_e32 v40, 0x34f2, v2
	;; [unrolled: 1-line block ×3, first 2 shown]
	v_pack_b32_f16 v2, v35, v44
	v_fmac_f16_e32 v72, 0x34f2, v0
	v_fmac_f16_e32 v69, 0x34f2, v0
	v_pack_b32_f16 v0, v33, v41
	v_add_f16_e32 v1, v7, v3
	v_pack_b32_f16 v3, v36, v68
	v_pack_b32_f16 v7, v11, v37
	;; [unrolled: 1-line block ×4, first 2 shown]
	ds_write2_b32 v46, v0, v2 offset1:13
	ds_write2_b32 v46, v3, v7 offset0:26 offset1:39
	ds_write2_b32 v46, v11, v14 offset0:52 offset1:65
	v_pack_b32_f16 v0, v66, v38
	v_pack_b32_f16 v2, v15, v71
	;; [unrolled: 1-line block ×9, first 2 shown]
	ds_write2_b32 v46, v0, v2 offset0:78 offset1:91
	ds_write2_b32 v46, v3, v7 offset0:104 offset1:117
	;; [unrolled: 1-line block ×4, first 2 shown]
	ds_write_b32 v82, v6 offset:728
	s_waitcnt lgkmcnt(0)
	s_barrier
	buffer_gl0_inv
	ds_read2_b32 v[0:1], v46 offset1:13
	ds_read2_b32 v[2:3], v46 offset0:52 offset1:65
	ds_read2_b32 v[4:5], v46 offset0:130 offset1:143
	;; [unrolled: 1-line block ×6, first 2 shown]
	ds_read_b32 v17, v46 offset:728
	s_waitcnt lgkmcnt(7)
	v_lshrrev_b32_e32 v18, 16, v0
	s_waitcnt lgkmcnt(6)
	v_lshrrev_b32_e32 v29, 16, v3
	;; [unrolled: 2-line block ×4, first 2 shown]
	v_mul_f16_sdwa v44, v27, v3 dst_sel:DWORD dst_unused:UNUSED_PAD src0_sel:WORD_1 src1_sel:DWORD
	v_lshrrev_b32_e32 v34, 16, v5
	v_mul_f16_sdwa v42, v27, v29 dst_sel:DWORD dst_unused:UNUSED_PAD src0_sel:WORD_1 src1_sel:DWORD
	v_mul_f16_sdwa v68, v28, v30 dst_sel:DWORD dst_unused:UNUSED_PAD src0_sel:WORD_1 src1_sel:DWORD
	v_lshrrev_b32_e32 v36, 16, v7
	s_waitcnt lgkmcnt(2)
	v_lshrrev_b32_e32 v37, 16, v13
	s_waitcnt lgkmcnt(1)
	v_lshrrev_b32_e32 v39, 16, v15
	v_fmac_f16_e32 v42, v27, v3
	v_mul_f16_sdwa v3, v28, v4 dst_sel:DWORD dst_unused:UNUSED_PAD src0_sel:WORD_1 src1_sel:DWORD
	v_fma_f16 v27, v27, v29, -v44
	v_mul_f16_sdwa v29, v25, v33 dst_sel:DWORD dst_unused:UNUSED_PAD src0_sel:WORD_1 src1_sel:DWORD
	v_fmac_f16_e32 v68, v28, v4
	v_mul_f16_sdwa v4, v25, v6 dst_sel:DWORD dst_unused:UNUSED_PAD src0_sel:WORD_1 src1_sel:DWORD
	v_fma_f16 v3, v28, v30, -v3
	v_mul_f16_sdwa v28, v26, v34 dst_sel:DWORD dst_unused:UNUSED_PAD src0_sel:WORD_1 src1_sel:DWORD
	;; [unrolled: 4-line block ×4, first 2 shown]
	v_lshrrev_b32_e32 v40, 16, v14
	v_fmac_f16_e32 v25, v23, v7
	v_mul_f16_sdwa v7, v24, v13 dst_sel:DWORD dst_unused:UNUSED_PAD src0_sel:WORD_1 src1_sel:DWORD
	v_lshrrev_b32_e32 v43, 16, v16
	v_fma_f16 v5, v23, v36, -v5
	v_mul_f16_sdwa v23, v21, v39 dst_sel:DWORD dst_unused:UNUSED_PAD src0_sel:WORD_1 src1_sel:DWORD
	v_fmac_f16_e32 v26, v24, v13
	v_mul_f16_sdwa v13, v21, v15 dst_sel:DWORD dst_unused:UNUSED_PAD src0_sel:WORD_1 src1_sel:DWORD
	v_fma_f16 v7, v24, v37, -v7
	v_mul_f16_sdwa v24, v22, v40 dst_sel:DWORD dst_unused:UNUSED_PAD src0_sel:WORD_1 src1_sel:DWORD
	s_waitcnt lgkmcnt(0)
	v_lshrrev_b32_e32 v66, 16, v17
	v_fmac_f16_e32 v23, v21, v15
	v_mul_f16_sdwa v15, v22, v14 dst_sel:DWORD dst_unused:UNUSED_PAD src0_sel:WORD_1 src1_sel:DWORD
	v_fma_f16 v13, v21, v39, -v13
	v_mul_f16_sdwa v21, v19, v43 dst_sel:DWORD dst_unused:UNUSED_PAD src0_sel:WORD_1 src1_sel:DWORD
	v_fmac_f16_e32 v24, v22, v14
	v_mul_f16_sdwa v14, v19, v16 dst_sel:DWORD dst_unused:UNUSED_PAD src0_sel:WORD_1 src1_sel:DWORD
	v_fma_f16 v15, v22, v40, -v15
	v_mul_f16_sdwa v22, v20, v66 dst_sel:DWORD dst_unused:UNUSED_PAD src0_sel:WORD_1 src1_sel:DWORD
	v_fmac_f16_e32 v21, v19, v16
	v_mul_f16_sdwa v16, v20, v17 dst_sel:DWORD dst_unused:UNUSED_PAD src0_sel:WORD_1 src1_sel:DWORD
	v_fma_f16 v14, v19, v43, -v14
	v_add_f16_e32 v19, v42, v68
	v_fmac_f16_e32 v22, v20, v17
	v_add_f16_e32 v17, v0, v42
	v_fma_f16 v16, v20, v66, -v16
	v_add_f16_e32 v20, v27, v3
	v_fma_f16 v0, -0.5, v19, v0
	v_sub_f16_e32 v19, v27, v3
	v_add_f16_e32 v27, v18, v27
	v_lshrrev_b32_e32 v32, 16, v1
	v_fmac_f16_e32 v18, -0.5, v20
	v_sub_f16_e32 v20, v42, v68
	v_fmamk_f16 v30, v19, 0xbaee, v0
	v_fmac_f16_e32 v0, 0x3aee, v19
	v_add_f16_e32 v19, v29, v28
	v_add_f16_e32 v3, v27, v3
	v_fmamk_f16 v27, v20, 0x3aee, v18
	v_fmac_f16_e32 v18, 0xbaee, v20
	v_add_f16_e32 v20, v4, v6
	v_add_f16_e32 v33, v1, v29
	v_fmac_f16_e32 v1, -0.5, v19
	v_sub_f16_e32 v19, v4, v6
	v_add_f16_e32 v4, v32, v4
	v_fmac_f16_e32 v32, -0.5, v20
	v_sub_f16_e32 v20, v29, v28
	v_lshrrev_b32_e32 v35, 16, v11
	v_add_f16_e32 v33, v33, v28
	v_add_f16_e32 v4, v4, v6
	;; [unrolled: 1-line block ×3, first 2 shown]
	v_fmamk_f16 v28, v19, 0xbaee, v1
	v_fmac_f16_e32 v1, 0x3aee, v19
	v_fmamk_f16 v19, v20, 0x3aee, v32
	v_fmac_f16_e32 v32, 0xbaee, v20
	v_add_f16_e32 v20, v5, v7
	v_add_f16_e32 v29, v11, v25
	v_fma_f16 v6, -0.5, v6, v11
	v_sub_f16_e32 v11, v5, v7
	v_add_f16_e32 v5, v35, v5
	v_fmac_f16_e32 v35, -0.5, v20
	v_sub_f16_e32 v20, v25, v26
	v_lshrrev_b32_e32 v38, 16, v12
	v_fmamk_f16 v25, v11, 0xbaee, v6
	v_add_f16_e32 v5, v5, v7
	v_add_f16_e32 v7, v23, v24
	v_fmac_f16_e32 v6, 0x3aee, v11
	v_fmamk_f16 v11, v20, 0x3aee, v35
	v_fmac_f16_e32 v35, 0xbaee, v20
	v_add_f16_e32 v20, v13, v15
	v_add_f16_e32 v29, v29, v26
	;; [unrolled: 1-line block ×3, first 2 shown]
	v_fmac_f16_e32 v12, -0.5, v7
	v_sub_f16_e32 v7, v13, v15
	v_add_f16_e32 v13, v38, v13
	v_fmac_f16_e32 v38, -0.5, v20
	v_sub_f16_e32 v20, v23, v24
	v_lshrrev_b32_e32 v41, 16, v2
	v_fmamk_f16 v23, v7, 0xbaee, v12
	v_fmac_f16_e32 v12, 0x3aee, v7
	v_add_f16_e32 v7, v13, v15
	v_add_f16_e32 v13, v21, v22
	v_fmamk_f16 v15, v20, 0x3aee, v38
	v_fmac_f16_e32 v38, 0xbaee, v20
	v_add_f16_e32 v20, v14, v16
	v_add_f16_e32 v17, v17, v68
	;; [unrolled: 1-line block ×4, first 2 shown]
	v_fmac_f16_e32 v2, -0.5, v13
	v_sub_f16_e32 v13, v14, v16
	v_add_f16_e32 v14, v41, v14
	v_fmac_f16_e32 v41, -0.5, v20
	v_sub_f16_e32 v20, v21, v22
	v_add_f16_e32 v21, v24, v22
	v_fmamk_f16 v22, v13, 0xbaee, v2
	v_fmac_f16_e32 v2, 0x3aee, v13
	v_add_f16_e32 v13, v14, v16
	v_pack_b32_f16 v3, v17, v3
	v_pack_b32_f16 v16, v30, v27
	;; [unrolled: 1-line block ×5, first 2 shown]
	v_fmamk_f16 v14, v20, 0x3aee, v41
	v_fmac_f16_e32 v41, 0xbaee, v20
	ds_write_b32 v46, v3
	v_pack_b32_f16 v3, v33, v4
	ds_write2_b32 v67, v16, v17 offset0:65 offset1:78
	ds_write2_b32 v67, v0, v1 offset0:130 offset1:143
	v_pack_b32_f16 v0, v29, v5
	v_pack_b32_f16 v1, v25, v11
	v_pack_b32_f16 v4, v6, v35
	v_pack_b32_f16 v6, v23, v15
	v_pack_b32_f16 v5, v26, v7
	v_pack_b32_f16 v7, v12, v38
	v_pack_b32_f16 v11, v21, v13
	v_pack_b32_f16 v12, v22, v14
	v_pack_b32_f16 v2, v2, v41
	ds_write2_b32 v67, v3, v0 offset0:13 offset1:26
	ds_write2_b32 v67, v1, v6 offset0:91 offset1:104
	;; [unrolled: 1-line block ×5, first 2 shown]
	s_waitcnt lgkmcnt(0)
	s_barrier
	buffer_gl0_inv
	ds_read2_b32 v[0:1], v46 offset1:15
	s_waitcnt lgkmcnt(0)
	v_lshrrev_b32_e32 v4, 16, v0
	v_lshrrev_b32_e32 v13, 16, v1
	v_mul_f16_sdwa v2, v65, v4 dst_sel:DWORD dst_unused:UNUSED_PAD src0_sel:WORD_1 src1_sel:DWORD
	v_mul_f16_sdwa v14, v64, v13 dst_sel:DWORD dst_unused:UNUSED_PAD src0_sel:WORD_1 src1_sel:DWORD
	v_fmac_f16_e32 v2, v65, v0
	v_mul_f16_sdwa v0, v65, v0 dst_sel:DWORD dst_unused:UNUSED_PAD src0_sel:WORD_1 src1_sel:DWORD
	v_fmac_f16_e32 v14, v64, v1
	v_mul_f16_sdwa v1, v64, v1 dst_sel:DWORD dst_unused:UNUSED_PAD src0_sel:WORD_1 src1_sel:DWORD
	v_cvt_f32_f16_e32 v2, v2
	v_fma_f16 v0, v65, v4, -v0
	v_fma_f16 v1, v64, v13, -v1
	v_cvt_f64_f32_e32 v[2:3], v2
	v_cvt_f32_f16_e32 v0, v0
	v_cvt_f64_f32_e32 v[4:5], v0
	v_mul_f64 v[2:3], v[2:3], s[4:5]
	v_mul_f64 v[4:5], v[4:5], s[4:5]
	v_and_or_b32 v0, 0x1ff, v3, v2
	v_lshrrev_b32_e32 v2, 8, v3
	v_bfe_u32 v6, v3, 20, 11
	v_cmp_ne_u32_e64 s0, 0, v0
	v_and_or_b32 v4, 0x1ff, v5, v4
	v_lshrrev_b32_e32 v12, 8, v5
	v_bfe_u32 v15, v5, 20, 11
	v_add_nc_u32_e32 v17, 0xfffffc10, v6
	v_cndmask_b32_e64 v0, 0, 1, s0
	v_cmp_ne_u32_e64 s0, 0, v4
	v_lshrrev_b32_e32 v5, 16, v5
	v_and_or_b32 v2, 0xffe, v2, v0
	v_sub_nc_u32_e32 v0, 0x3f1, v6
	v_cndmask_b32_e64 v4, 0, 1, s0
	v_cvt_f32_f16_e32 v6, v14
	v_or_b32_e32 v7, 0x1000, v2
	v_med3_i32 v0, v0, 0, 13
	v_and_or_b32 v16, 0xffe, v12, v4
	v_sub_nc_u32_e32 v4, 0x3f1, v15
	v_add_nc_u32_e32 v15, 0xfffffc10, v15
	v_lshrrev_b32_e32 v11, v0, v7
	v_or_b32_e32 v14, 0x1000, v16
	v_med3_i32 v4, v4, 0, 13
	v_lshl_or_b32 v13, v15, 12, v16
	v_cmp_gt_i32_e64 s2, 1, v15
	v_lshlrev_b32_e32 v0, v0, v11
	v_lshrrev_b32_e32 v18, v4, v14
	v_cmp_ne_u32_e64 s0, v0, v7
	v_cvt_f64_f32_e32 v[6:7], v6
	v_lshlrev_b32_e32 v4, v4, v18
	v_cndmask_b32_e64 v0, 0, 1, s0
	v_cmp_gt_i32_e64 s0, 1, v17
	v_or_b32_e32 v0, v11, v0
	v_lshl_or_b32 v11, v17, 12, v2
	v_cndmask_b32_e64 v0, v11, v0, s0
	v_cmp_ne_u32_e64 s0, v4, v14
	v_cvt_f32_f16_e32 v14, v1
	v_mad_u64_u32 v[11:12], null, s10, v10, 0
	v_and_b32_e32 v19, 7, v0
	v_cndmask_b32_e64 v4, 0, 1, s0
	v_cmp_lt_i32_e64 s0, 5, v19
	v_cmp_eq_u32_e64 s1, 3, v19
	v_or_b32_e32 v4, v18, v4
	v_lshrrev_b32_e32 v18, 2, v0
	v_mul_f64 v[0:1], v[6:7], s[4:5]
	v_cvt_f64_f32_e32 v[6:7], v14
	s_or_b32 s0, s1, s0
	v_cndmask_b32_e64 v4, v13, v4, s2
	v_add_co_ci_u32_e64 v13, s0, 0, v18, s0
	v_cmp_ne_u32_e64 s0, 0, v2
	v_mov_b32_e32 v2, v12
	v_and_b32_e32 v18, 7, v4
	v_lshrrev_b32_e32 v4, 2, v4
	v_cmp_eq_u32_e64 s2, 0x40f, v17
	v_cndmask_b32_e64 v14, 0, 1, s0
	v_cmp_gt_i32_e64 s0, 31, v17
	v_cmp_eq_u32_e64 s1, 3, v18
	v_lshl_or_b32 v14, v14, 9, 0x7c00
	v_cndmask_b32_e64 v19, 0x7c00, v13, s0
	v_cmp_lt_i32_e64 s0, 5, v18
	v_mad_u64_u32 v[12:13], null, s11, v10, v[2:3]
	v_lshrrev_b32_e32 v10, 16, v3
	v_and_or_b32 v0, 0x1ff, v1, v0
	s_or_b32 s0, s1, s0
	v_cndmask_b32_e64 v2, v19, v14, s2
	v_add_co_ci_u32_e64 v17, s0, 0, v4, s0
	v_mul_f64 v[3:4], v[6:7], s[4:5]
	v_cmp_ne_u32_e64 s0, 0, v0
	v_lshrrev_b32_e32 v18, 8, v1
	v_bfe_u32 v19, v1, 20, 11
	ds_read2_b32 v[6:7], v46 offset0:30 offset1:45
	v_mad_u64_u32 v[13:14], null, s8, v62, 0
	v_cndmask_b32_e64 v0, 0, 1, s0
	v_cmp_ne_u32_e64 s0, 0, v16
	v_and_or_b32 v10, 0x8000, v10, v2
	v_and_or_b32 v18, 0xffe, v18, v0
	v_sub_nc_u32_e32 v0, 0x3f1, v19
	v_cndmask_b32_e64 v16, 0, 1, s0
	v_cmp_gt_i32_e64 s0, 31, v15
	v_add_nc_u32_e32 v19, 0xfffffc10, v19
	v_or_b32_e32 v20, 0x1000, v18
	v_med3_i32 v21, v0, 0, 13
	v_mov_b32_e32 v0, v14
	v_cndmask_b32_e64 v17, 0x7c00, v17, s0
	v_lshl_or_b32 v16, v16, 9, 0x7c00
	v_cmp_eq_u32_e64 s0, 0x40f, v15
	v_lshrrev_b32_e32 v14, v21, v20
	v_and_or_b32 v15, 0x1ff, v4, v3
	v_mad_u64_u32 v[2:3], null, s9, v62, v[0:1]
	v_cndmask_b32_e64 v17, v17, v16, s0
	v_lshlrev_b32_e32 v3, v21, v14
	v_cmp_ne_u32_e64 s0, 0, v15
	s_waitcnt lgkmcnt(0)
	v_lshrrev_b32_e32 v0, 16, v6
	v_lshrrev_b32_e32 v16, 8, v4
	v_bfe_u32 v22, v4, 20, 11
	v_lshrrev_b32_e32 v4, 16, v4
	v_cndmask_b32_e64 v15, 0, 1, s0
	v_cmp_ne_u32_e64 s0, v3, v20
	v_mul_f16_sdwa v21, v63, v0 dst_sel:DWORD dst_unused:UNUSED_PAD src0_sel:WORD_1 src1_sel:DWORD
	v_and_or_b32 v20, 0xffe, v16, v15
	v_cndmask_b32_e64 v3, 0, 1, s0
	v_fmac_f16_e32 v21, v63, v6
	v_sub_nc_u32_e32 v15, 0x3f1, v22
	v_cmp_gt_i32_e64 s0, 1, v19
	v_or_b32_e32 v3, v14, v3
	v_lshl_or_b32 v14, v19, 12, v18
	v_cvt_f32_f16_e32 v16, v21
	v_or_b32_e32 v21, 0x1000, v20
	v_med3_i32 v23, v15, 0, 13
	v_cndmask_b32_e64 v24, v14, v3, s0
	v_cvt_f64_f32_e32 v[15:16], v16
	v_and_or_b32 v3, 0x8000, v5, v17
	v_and_b32_e32 v5, 0xffff, v10
	v_lshrrev_b32_e32 v10, v23, v21
	v_and_b32_e32 v17, 7, v24
	v_mov_b32_e32 v14, v2
	v_lshl_or_b32 v25, v3, 16, v5
	v_lshlrev_b32_e32 v5, v23, v10
	v_cmp_lt_i32_e64 s0, 5, v17
	v_cmp_eq_u32_e64 s1, 3, v17
	v_lshlrev_b64 v[2:3], 2, v[11:12]
	v_lshrrev_b32_e32 v11, 2, v24
	v_cmp_ne_u32_e64 s2, v5, v21
	v_add_nc_u32_e32 v12, 0xfffffc10, v22
	s_or_b32 s0, s1, s0
	v_mul_f16_sdwa v17, v63, v6 dst_sel:DWORD dst_unused:UNUSED_PAD src0_sel:WORD_1 src1_sel:DWORD
	v_add_co_ci_u32_e64 v11, s0, 0, v11, s0
	v_cndmask_b32_e64 v5, 0, 1, s2
	v_cmp_ne_u32_e64 s0, 0, v18
	v_lshl_or_b32 v21, v12, 12, v20
	v_fma_f16 v0, v63, v0, -v17
	v_or_b32_e32 v10, v10, v5
	v_mul_f64 v[5:6], v[15:16], s[4:5]
	v_cndmask_b32_e64 v15, 0, 1, s0
	v_cmp_gt_i32_e64 s0, 1, v12
	v_cvt_f32_f16_e32 v0, v0
	v_lshl_or_b32 v15, v15, 9, 0x7c00
	v_cndmask_b32_e64 v16, v21, v10, s0
	v_cmp_gt_i32_e64 s0, 31, v19
	v_and_b32_e32 v18, 7, v16
	v_cndmask_b32_e64 v17, 0x7c00, v11, s0
	v_cvt_f64_f32_e32 v[10:11], v0
	v_add_co_u32 v2, s0, s6, v2
	v_add_co_ci_u32_e64 v3, s0, s7, v3, s0
	v_cmp_eq_u32_e64 s0, 0x40f, v19
	v_cmp_eq_u32_e64 s1, 3, v18
	s_mul_i32 s6, s8, 60
	v_and_or_b32 v5, 0x1ff, v6, v5
	v_cndmask_b32_e64 v15, v17, v15, s0
	v_cmp_lt_i32_e64 s0, 5, v18
	v_lshrrev_b32_e32 v17, 16, v1
	v_lshlrev_b64 v[0:1], 2, v[13:14]
	v_lshrrev_b32_e32 v13, 2, v16
	v_lshrrev_b32_e32 v16, 8, v6
	s_or_b32 s0, s1, s0
	v_and_or_b32 v14, 0x8000, v17, v15
	v_bfe_u32 v17, v6, 20, 11
	v_add_co_ci_u32_e64 v13, s0, 0, v13, s0
	v_cmp_ne_u32_e64 s0, 0, v20
	v_mul_f64 v[10:11], v[10:11], s[4:5]
	v_lshrrev_b32_e32 v18, 16, v7
	s_mul_i32 s1, s9, 60
	v_cndmask_b32_e64 v15, 0, 1, s0
	v_cmp_ne_u32_e64 s0, 0, v5
	s_add_i32 s3, s3, s1
	v_lshl_or_b32 v15, v15, 9, 0x7c00
	v_cndmask_b32_e64 v5, 0, 1, s0
	v_cmp_gt_i32_e64 s0, 31, v12
	v_and_or_b32 v16, 0xffe, v16, v5
	v_cndmask_b32_e64 v13, 0x7c00, v13, s0
	v_cmp_eq_u32_e64 s0, 0x40f, v12
	v_sub_nc_u32_e32 v5, 0x3f1, v17
	v_add_nc_u32_e32 v17, 0xfffffc10, v17
	v_cndmask_b32_e64 v12, v13, v15, s0
	v_mul_f16_sdwa v15, v61, v18 dst_sel:DWORD dst_unused:UNUSED_PAD src0_sel:WORD_1 src1_sel:DWORD
	v_or_b32_e32 v13, 0x1000, v16
	v_med3_i32 v5, v5, 0, 13
	v_and_or_b32 v10, 0x1ff, v11, v10
	v_add_co_u32 v0, s0, v2, v0
	v_add_co_ci_u32_e64 v1, s0, v3, v1, s0
	v_and_or_b32 v4, 0x8000, v4, v12
	v_and_b32_e32 v12, 0xffff, v14
	v_fmac_f16_e32 v15, v61, v7
	v_lshrrev_b32_e32 v14, v5, v13
	v_cmp_ne_u32_e64 s0, 0, v10
	v_bfe_u32 v20, v11, 20, 11
	v_lshl_or_b32 v19, v4, 16, v12
	v_cvt_f32_f16_e32 v4, v15
	v_lshlrev_b32_e32 v12, v5, v14
	v_cndmask_b32_e64 v10, 0, 1, s0
	v_lshrrev_b32_e32 v15, 8, v11
	v_mul_f16_sdwa v7, v61, v7 dst_sel:DWORD dst_unused:UNUSED_PAD src0_sel:WORD_1 src1_sel:DWORD
	v_cvt_f64_f32_e32 v[4:5], v4
	v_cmp_ne_u32_e64 s0, v12, v13
	v_sub_nc_u32_e32 v13, 0x3f1, v20
	v_and_or_b32 v10, 0xffe, v15, v10
	v_fma_f16 v7, v61, v18, -v7
	global_store_dword v[0:1], v25, off
	v_cndmask_b32_e64 v12, 0, 1, s0
	v_med3_i32 v13, v13, 0, 13
	v_or_b32_e32 v15, 0x1000, v10
	v_cmp_gt_i32_e64 s0, 1, v17
	v_cvt_f32_f16_e32 v7, v7
	v_or_b32_e32 v12, v14, v12
	v_lshl_or_b32 v14, v17, 12, v16
	v_lshrrev_b32_e32 v21, v13, v15
	v_add_nc_u32_e32 v20, 0xfffffc10, v20
	v_lshrrev_b32_e32 v11, 16, v11
	v_cndmask_b32_e64 v14, v14, v12, s0
	v_lshlrev_b32_e32 v22, v13, v21
	v_add_co_u32 v0, s0, v0, s6
	v_add_co_ci_u32_e64 v1, s0, s3, v1, s0
	v_and_b32_e32 v18, 7, v14
	v_cmp_ne_u32_e64 s1, v22, v15
	v_mul_f64 v[4:5], v[4:5], s[4:5]
	v_cvt_f64_f32_e32 v[12:13], v7
	v_lshrrev_b32_e32 v14, 2, v14
	v_cmp_lt_i32_e64 s0, 5, v18
	v_cndmask_b32_e64 v7, 0, 1, s1
	v_cmp_eq_u32_e64 s1, 3, v18
	v_lshl_or_b32 v15, v20, 12, v10
	global_store_dword v[0:1], v19, off
	v_or_b32_e32 v7, v21, v7
	s_or_b32 s0, s1, s0
	v_add_co_ci_u32_e64 v14, s0, 0, v14, s0
	v_cmp_ne_u32_e64 s0, 0, v16
	v_cndmask_b32_e64 v16, 0, 1, s0
	v_cmp_gt_i32_e64 s0, 1, v20
	v_and_or_b32 v4, 0x1ff, v5, v4
	v_mul_f64 v[12:13], v[12:13], s[4:5]
	v_lshl_or_b32 v16, v16, 9, 0x7c00
	v_cndmask_b32_e64 v7, v15, v7, s0
	v_cmp_gt_i32_e64 s0, 31, v17
	v_lshrrev_b32_e32 v21, 8, v5
	v_bfe_u32 v22, v5, 20, 11
	v_and_b32_e32 v19, 7, v7
	v_cndmask_b32_e64 v18, 0x7c00, v14, s0
	v_cmp_ne_u32_e64 s0, 0, v4
	ds_read2_b32 v[14:15], v46 offset0:60 offset1:75
	v_cmp_eq_u32_e64 s1, 3, v19
	v_cndmask_b32_e64 v4, 0, 1, s0
	v_cmp_eq_u32_e64 s0, 0x40f, v17
	v_sub_nc_u32_e32 v17, 0x3f1, v22
	v_add_nc_u32_e32 v22, 0xfffffc10, v22
	v_and_or_b32 v4, 0xffe, v21, v4
	v_cndmask_b32_e64 v16, v18, v16, s0
	v_cmp_lt_i32_e64 s0, 5, v19
	v_lshrrev_b32_e32 v18, 16, v6
	v_lshrrev_b32_e32 v6, 2, v7
	v_or_b32_e32 v7, 0x1000, v4
	v_med3_i32 v17, v17, 0, 13
	s_or_b32 s0, s1, s0
	v_and_or_b32 v12, 0x1ff, v13, v12
	v_add_co_ci_u32_e64 v6, s0, 0, v6, s0
	v_cmp_ne_u32_e64 s0, 0, v10
	v_lshrrev_b32_e32 v19, v17, v7
	s_waitcnt lgkmcnt(0)
	v_lshrrev_b32_e32 v21, 16, v14
	v_lshrrev_b32_e32 v24, 8, v13
	v_bfe_u32 v25, v13, 20, 11
	v_cndmask_b32_e64 v10, 0, 1, s0
	v_cmp_gt_i32_e64 s0, 31, v20
	v_and_or_b32 v16, 0x8000, v18, v16
	v_lshrrev_b32_e32 v13, 16, v13
	v_lshl_or_b32 v10, v10, 9, 0x7c00
	v_cndmask_b32_e64 v23, 0x7c00, v6, s0
	v_lshlrev_b32_e32 v6, v17, v19
	v_cmp_ne_u32_e64 s0, 0, v12
	v_mul_f16_sdwa v17, v60, v21 dst_sel:DWORD dst_unused:UNUSED_PAD src0_sel:WORD_1 src1_sel:DWORD
	v_and_b32_e32 v16, 0xffff, v16
	v_cndmask_b32_e64 v12, 0, 1, s0
	v_cmp_ne_u32_e64 s0, v6, v7
	v_fmac_f16_e32 v17, v60, v14
	v_sub_nc_u32_e32 v7, 0x3f1, v25
	v_mul_f16_sdwa v14, v60, v14 dst_sel:DWORD dst_unused:UNUSED_PAD src0_sel:WORD_1 src1_sel:DWORD
	v_and_or_b32 v12, 0xffe, v24, v12
	v_cndmask_b32_e64 v6, 0, 1, s0
	v_cvt_f32_f16_e32 v17, v17
	v_lshl_or_b32 v24, v22, 12, v4
	v_med3_i32 v27, v7, 0, 13
	v_or_b32_e32 v26, 0x1000, v12
	v_or_b32_e32 v19, v19, v6
	v_cmp_gt_i32_e64 s0, 1, v22
	v_cvt_f64_f32_e32 v[6:7], v17
	v_cndmask_b32_e64 v17, v24, v19, s0
	v_lshrrev_b32_e32 v19, v27, v26
	v_cmp_eq_u32_e64 s0, 0x40f, v20
	v_and_b32_e32 v18, 7, v17
	v_lshlrev_b32_e32 v20, v27, v19
	v_cndmask_b32_e64 v10, v23, v10, s0
	v_lshrrev_b32_e32 v17, 2, v17
	v_cmp_lt_i32_e64 s0, 5, v18
	v_cmp_ne_u32_e64 s1, v20, v26
	v_and_or_b32 v23, 0x8000, v11, v10
	v_fma_f16 v10, v60, v21, -v14
	v_add_nc_u32_e32 v14, 0xfffffc10, v25
	v_lshrrev_b32_e32 v20, 16, v5
	v_cndmask_b32_e64 v11, 0, 1, s1
	v_cmp_eq_u32_e64 s1, 3, v18
	v_cvt_f32_f16_e32 v10, v10
	v_mul_f64 v[6:7], v[6:7], s[4:5]
	v_lshl_or_b32 v16, v23, 16, v16
	v_or_b32_e32 v18, v19, v11
	s_or_b32 s0, s1, s0
	v_cvt_f64_f32_e32 v[10:11], v10
	v_add_co_ci_u32_e64 v17, s0, 0, v17, s0
	v_cmp_ne_u32_e64 s0, 0, v4
	v_lshl_or_b32 v19, v14, 12, v12
	v_cndmask_b32_e64 v4, 0, 1, s0
	v_cmp_gt_i32_e64 s0, 1, v14
	v_lshl_or_b32 v4, v4, 9, 0x7c00
	v_cndmask_b32_e64 v18, v19, v18, s0
	v_cmp_gt_i32_e64 s0, 31, v22
	v_and_or_b32 v6, 0x1ff, v7, v6
	v_and_b32_e32 v19, 7, v18
	v_cndmask_b32_e64 v17, 0x7c00, v17, s0
	v_add_co_u32 v0, s0, v0, s6
	v_add_co_ci_u32_e64 v1, s0, s3, v1, s0
	v_cmp_eq_u32_e64 s0, 0x40f, v22
	v_cmp_ne_u32_e64 s2, 0, v6
	v_cmp_eq_u32_e64 s1, 3, v19
	v_lshrrev_b32_e32 v18, 2, v18
	v_bfe_u32 v21, v7, 20, 11
	v_cndmask_b32_e64 v17, v17, v4, s0
	v_mul_f64 v[4:5], v[10:11], s[4:5]
	v_cmp_lt_i32_e64 s0, 5, v19
	v_lshrrev_b32_e32 v19, 16, v15
	v_cndmask_b32_e64 v6, 0, 1, s2
	v_lshrrev_b32_e32 v10, 8, v7
	v_and_or_b32 v17, 0x8000, v20, v17
	s_or_b32 s0, s1, s0
	v_mul_f16_sdwa v11, v59, v19 dst_sel:DWORD dst_unused:UNUSED_PAD src0_sel:WORD_1 src1_sel:DWORD
	v_add_co_ci_u32_e64 v18, s0, 0, v18, s0
	v_and_or_b32 v6, 0xffe, v10, v6
	v_sub_nc_u32_e32 v10, 0x3f1, v21
	v_cmp_ne_u32_e64 s0, 0, v12
	v_fmac_f16_e32 v11, v59, v15
	v_add_nc_u32_e32 v21, 0xfffffc10, v21
	v_or_b32_e32 v22, 0x1000, v6
	v_med3_i32 v23, v10, 0, 13
	v_cndmask_b32_e64 v12, 0, 1, s0
	v_cmp_gt_i32_e64 s0, 31, v14
	v_cvt_f32_f16_e32 v10, v11
	v_and_b32_e32 v17, 0xffff, v17
	v_lshrrev_b32_e32 v24, v23, v22
	v_lshl_or_b32 v12, v12, 9, 0x7c00
	v_cndmask_b32_e64 v18, 0x7c00, v18, s0
	v_and_or_b32 v4, 0x1ff, v5, v4
	v_cmp_eq_u32_e64 s0, 0x40f, v14
	v_cvt_f64_f32_e32 v[10:11], v10
	v_lshlrev_b32_e32 v14, v23, v24
	v_bfe_u32 v20, v5, 20, 11
	v_mul_f16_sdwa v15, v59, v15 dst_sel:DWORD dst_unused:UNUSED_PAD src0_sel:WORD_1 src1_sel:DWORD
	v_cndmask_b32_e64 v12, v18, v12, s0
	v_cmp_ne_u32_e64 s0, 0, v4
	v_lshrrev_b32_e32 v18, 8, v5
	global_store_dword v[0:1], v16, off
	v_fma_f16 v15, v59, v19, -v15
	v_and_or_b32 v12, 0x8000, v13, v12
	v_cndmask_b32_e64 v4, 0, 1, s0
	v_cmp_ne_u32_e64 s0, v14, v22
	v_lshl_or_b32 v22, v21, 12, v6
	v_cvt_f32_f16_e32 v15, v15
	v_lshl_or_b32 v16, v12, 16, v17
	v_and_or_b32 v4, 0xffe, v18, v4
	v_cndmask_b32_e64 v14, 0, 1, s0
	v_sub_nc_u32_e32 v18, 0x3f1, v20
	v_cmp_gt_i32_e64 s0, 1, v21
	v_lshrrev_b32_e32 v7, 16, v7
	v_or_b32_e32 v13, 0x1000, v4
	v_or_b32_e32 v14, v24, v14
	v_med3_i32 v18, v18, 0, 13
	v_mul_f64 v[10:11], v[10:11], s[4:5]
	v_lshrrev_b32_e32 v5, 16, v5
	v_cndmask_b32_e64 v14, v22, v14, s0
	v_lshrrev_b32_e32 v22, v18, v13
	v_and_b32_e32 v23, 7, v14
	v_lshlrev_b32_e32 v12, v18, v22
	v_lshrrev_b32_e32 v14, 2, v14
	v_add_nc_u32_e32 v18, 0xfffffc10, v20
	v_cmp_lt_i32_e64 s0, 5, v23
	v_cmp_eq_u32_e64 s1, 3, v23
	v_cmp_ne_u32_e64 s2, v12, v13
	v_cvt_f64_f32_e32 v[12:13], v15
	v_lshl_or_b32 v15, v18, 12, v4
	s_or_b32 s0, s1, s0
	v_cndmask_b32_e64 v17, 0, 1, s2
	v_add_co_ci_u32_e64 v19, s0, 0, v14, s0
	v_cmp_ne_u32_e64 s0, 0, v6
	v_and_or_b32 v10, 0x1ff, v11, v10
	v_or_b32_e32 v14, v22, v17
	v_lshrrev_b32_e32 v20, 8, v11
	v_bfe_u32 v22, v11, 20, 11
	v_cndmask_b32_e64 v6, 0, 1, s0
	v_cmp_gt_i32_e64 s0, 1, v18
	v_lshrrev_b32_e32 v11, 16, v11
	v_lshl_or_b32 v6, v6, 9, 0x7c00
	v_cndmask_b32_e64 v17, v15, v14, s0
	v_cmp_ne_u32_e64 s0, 0, v10
	ds_read2_b32 v[14:15], v46 offset0:90 offset1:105
	v_mul_f64 v[12:13], v[12:13], s[4:5]
	v_and_b32_e32 v23, 7, v17
	v_cndmask_b32_e64 v10, 0, 1, s0
	v_cmp_gt_i32_e64 s0, 31, v21
	v_cmp_eq_u32_e64 s1, 3, v23
	v_and_or_b32 v10, 0xffe, v20, v10
	v_cndmask_b32_e64 v19, 0x7c00, v19, s0
	v_cmp_eq_u32_e64 s0, 0x40f, v21
	v_sub_nc_u32_e32 v20, 0x3f1, v22
	v_cndmask_b32_e64 v6, v19, v6, s0
	v_cmp_lt_i32_e64 s0, 5, v23
	v_or_b32_e32 v19, 0x1000, v10
	v_med3_i32 v20, v20, 0, 13
	v_and_or_b32 v21, 0x8000, v7, v6
	v_lshrrev_b32_e32 v6, 2, v17
	s_or_b32 s0, s1, s0
	s_waitcnt lgkmcnt(0)
	v_lshrrev_b32_e32 v17, 16, v14
	v_lshrrev_b32_e32 v23, v20, v19
	v_bfe_u32 v25, v13, 20, 11
	v_add_co_ci_u32_e64 v6, s0, 0, v6, s0
	v_cmp_ne_u32_e64 s0, 0, v4
	v_mul_f16_sdwa v7, v58, v17 dst_sel:DWORD dst_unused:UNUSED_PAD src0_sel:WORD_1 src1_sel:DWORD
	v_lshlrev_b32_e32 v20, v20, v23
	v_and_b32_e32 v21, 0xffff, v21
	v_cndmask_b32_e64 v4, 0, 1, s0
	v_cmp_gt_i32_e64 s0, 31, v18
	v_fmac_f16_e32 v7, v58, v14
	v_mul_f16_sdwa v14, v58, v14 dst_sel:DWORD dst_unused:UNUSED_PAD src0_sel:WORD_1 src1_sel:DWORD
	v_lshl_or_b32 v4, v4, 9, 0x7c00
	v_cndmask_b32_e64 v24, 0x7c00, v6, s0
	v_and_or_b32 v6, 0x1ff, v13, v12
	v_cmp_ne_u32_e64 s0, v20, v19
	v_cvt_f32_f16_e32 v7, v7
	v_add_nc_u32_e32 v19, 0xfffffc10, v22
	v_lshrrev_b32_e32 v22, 8, v13
	v_lshrrev_b32_e32 v13, 16, v13
	v_cndmask_b32_e64 v12, 0, 1, s0
	v_cmp_ne_u32_e64 s0, 0, v6
	v_cvt_f64_f32_e32 v[6:7], v7
	v_or_b32_e32 v12, v23, v12
	v_cndmask_b32_e64 v20, 0, 1, s0
	v_cmp_eq_u32_e64 s0, 0x40f, v18
	v_lshl_or_b32 v18, v19, 12, v10
	v_and_or_b32 v20, 0xffe, v22, v20
	v_cndmask_b32_e64 v4, v24, v4, s0
	v_sub_nc_u32_e32 v22, 0x3f1, v25
	v_cmp_gt_i32_e64 s0, 1, v19
	v_and_or_b32 v23, 0x8000, v5, v4
	v_med3_i32 v22, v22, 0, 13
	v_cndmask_b32_e64 v12, v18, v12, s0
	v_or_b32_e32 v18, 0x1000, v20
	v_add_co_u32 v0, s0, v0, s6
	v_add_co_ci_u32_e64 v1, s0, s3, v1, s0
	v_lshrrev_b32_e32 v24, v22, v18
	v_mul_f64 v[4:5], v[6:7], s[4:5]
	v_and_b32_e32 v26, 7, v12
	v_fma_f16 v7, v58, v17, -v14
	v_lshrrev_b32_e32 v12, 2, v12
	v_lshlrev_b32_e32 v6, v22, v24
	v_add_nc_u32_e32 v14, 0xfffffc10, v25
	v_cmp_lt_i32_e64 s0, 5, v26
	v_cvt_f32_f16_e32 v7, v7
	global_store_dword v[0:1], v16, off
	v_cmp_ne_u32_e64 s1, v6, v18
	v_lshl_or_b32 v17, v14, 12, v20
	v_lshl_or_b32 v21, v23, 16, v21
	v_cndmask_b32_e64 v6, 0, 1, s1
	v_cmp_eq_u32_e64 s1, 3, v26
	v_or_b32_e32 v16, v24, v6
	s_or_b32 s0, s1, s0
	v_cvt_f64_f32_e32 v[6:7], v7
	v_add_co_ci_u32_e64 v12, s0, 0, v12, s0
	v_cmp_ne_u32_e64 s0, 0, v10
	v_and_or_b32 v4, 0x1ff, v5, v4
	v_lshrrev_b32_e32 v18, 8, v5
	v_bfe_u32 v22, v5, 20, 11
	v_cndmask_b32_e64 v10, 0, 1, s0
	v_cmp_gt_i32_e64 s0, 1, v14
	v_lshl_or_b32 v10, v10, 9, 0x7c00
	v_cndmask_b32_e64 v16, v17, v16, s0
	v_cmp_gt_i32_e64 s0, 31, v19
	v_and_b32_e32 v17, 7, v16
	v_cndmask_b32_e64 v12, 0x7c00, v12, s0
	v_cmp_ne_u32_e64 s0, 0, v4
	v_mul_f64 v[6:7], v[6:7], s[4:5]
	v_lshrrev_b32_e32 v16, 2, v16
	v_cmp_eq_u32_e64 s1, 3, v17
	v_cndmask_b32_e64 v4, 0, 1, s0
	v_cmp_eq_u32_e64 s0, 0x40f, v19
	v_and_or_b32 v4, 0xffe, v18, v4
	v_cndmask_b32_e64 v10, v12, v10, s0
	v_cmp_lt_i32_e64 s0, 5, v17
	v_sub_nc_u32_e32 v12, 0x3f1, v22
	v_lshrrev_b32_e32 v18, 16, v15
	v_or_b32_e32 v17, 0x1000, v4
	v_and_or_b32 v24, 0x8000, v11, v10
	s_or_b32 s0, s1, s0
	v_med3_i32 v12, v12, 0, 13
	v_add_co_ci_u32_e64 v16, s0, 0, v16, s0
	v_cmp_ne_u32_e64 s0, 0, v20
	v_mul_f16_sdwa v23, v57, v18 dst_sel:DWORD dst_unused:UNUSED_PAD src0_sel:WORD_1 src1_sel:DWORD
	v_lshrrev_b32_e32 v20, v12, v17
	v_and_or_b32 v6, 0x1ff, v7, v6
	v_cndmask_b32_e64 v19, 0, 1, s0
	v_cmp_gt_i32_e64 s0, 31, v14
	v_lshlrev_b32_e32 v10, v12, v20
	v_fmac_f16_e32 v23, v57, v15
	v_mul_f16_sdwa v15, v57, v15 dst_sel:DWORD dst_unused:UNUSED_PAD src0_sel:WORD_1 src1_sel:DWORD
	v_lshl_or_b32 v19, v19, 9, 0x7c00
	v_cndmask_b32_e64 v16, 0x7c00, v16, s0
	v_cmp_eq_u32_e64 s0, 0x40f, v14
	v_cvt_f32_f16_e32 v11, v23
	v_fma_f16 v15, v57, v18, -v15
	v_cndmask_b32_e64 v12, v16, v19, s0
	v_cmp_ne_u32_e64 s0, v10, v17
	v_cvt_f64_f32_e32 v[10:11], v11
	v_lshrrev_b32_e32 v16, 8, v7
	v_bfe_u32 v17, v7, 20, 11
	v_add_nc_u32_e32 v19, 0xfffffc10, v22
	v_cndmask_b32_e64 v14, 0, 1, s0
	v_cmp_ne_u32_e64 s0, 0, v6
	v_and_or_b32 v12, 0x8000, v13, v12
	v_cvt_f32_f16_e32 v15, v15
	v_add_nc_u32_e32 v18, 0xfffffc10, v17
	v_or_b32_e32 v13, v20, v14
	v_cndmask_b32_e64 v6, 0, 1, s0
	v_lshl_or_b32 v14, v19, 12, v4
	v_cmp_gt_i32_e64 s0, 1, v19
	v_and_b32_e32 v20, 0xffff, v24
	v_and_or_b32 v6, 0xffe, v16, v6
	v_sub_nc_u32_e32 v16, 0x3f1, v17
	v_cndmask_b32_e64 v14, v14, v13, s0
	v_add_co_u32 v0, s0, v0, s6
	v_or_b32_e32 v22, 0x1000, v6
	v_med3_i32 v16, v16, 0, 13
	v_add_co_ci_u32_e64 v1, s0, s3, v1, s0
	v_and_b32_e32 v23, 7, v14
	v_mul_f64 v[10:11], v[10:11], s[4:5]
	v_lshrrev_b32_e32 v24, v16, v22
	v_lshl_or_b32 v20, v12, 16, v20
	v_add_co_u32 v12, s0, v0, s6
	v_add_co_ci_u32_e64 v13, s0, s3, v1, s0
	v_lshlrev_b32_e32 v16, v16, v24
	v_cmp_lt_i32_e64 s0, 5, v23
	v_cmp_eq_u32_e64 s1, 3, v23
	v_lshrrev_b32_e32 v14, 2, v14
	v_cmp_ne_u32_e64 s2, v16, v22
	s_or_b32 s0, s1, s0
	v_add_co_ci_u32_e64 v22, s0, 0, v14, s0
	v_cndmask_b32_e64 v16, 0, 1, s2
	v_cmp_ne_u32_e64 s0, 0, v4
	v_cvt_f64_f32_e32 v[14:15], v15
	v_and_or_b32 v10, 0x1ff, v11, v10
	v_or_b32_e32 v23, v24, v16
	v_lshl_or_b32 v24, v18, 12, v6
	v_cndmask_b32_e64 v4, 0, 1, s0
	v_cmp_gt_i32_e64 s0, 1, v18
	ds_read2_b32 v[16:17], v46 offset0:120 offset1:135
	v_lshrrev_b32_e32 v25, 8, v11
	v_bfe_u32 v26, v11, 20, 11
	v_lshl_or_b32 v4, v4, 9, 0x7c00
	v_cndmask_b32_e64 v23, v24, v23, s0
	v_cmp_gt_i32_e64 s0, 31, v19
	global_store_dword v[0:1], v21, off
	global_store_dword v[12:13], v20, off
	v_lshrrev_b32_e32 v11, 16, v11
	v_and_b32_e32 v24, 7, v23
	v_cndmask_b32_e64 v22, 0x7c00, v22, s0
	v_cmp_ne_u32_e64 s0, 0, v10
	v_cmp_eq_u32_e64 s1, 3, v24
	v_cndmask_b32_e64 v10, 0, 1, s0
	v_cmp_eq_u32_e64 s0, 0x40f, v19
	v_and_or_b32 v10, 0xffe, v25, v10
	v_cndmask_b32_e64 v19, v22, v4, s0
	v_cmp_lt_i32_e64 s0, 5, v24
	v_lshrrev_b32_e32 v22, 16, v5
	v_mul_f64 v[4:5], v[14:15], s[4:5]
	v_lshrrev_b32_e32 v15, 2, v23
	v_sub_nc_u32_e32 v25, 0x3f1, v26
	s_or_b32 s0, s1, s0
	v_or_b32_e32 v23, 0x1000, v10
	s_waitcnt lgkmcnt(0)
	v_lshrrev_b32_e32 v14, 16, v16
	v_add_co_ci_u32_e64 v15, s0, 0, v15, s0
	v_med3_i32 v24, v25, 0, 13
	v_cmp_ne_u32_e64 s0, 0, v6
	v_mul_f16_sdwa v25, v56, v14 dst_sel:DWORD dst_unused:UNUSED_PAD src0_sel:WORD_1 src1_sel:DWORD
	v_and_or_b32 v19, 0x8000, v22, v19
	v_lshrrev_b32_e32 v27, v24, v23
	v_cndmask_b32_e64 v6, 0, 1, s0
	v_cmp_gt_i32_e64 s0, 31, v18
	v_fmac_f16_e32 v25, v56, v16
	v_and_b32_e32 v19, 0xffff, v19
	v_lshlrev_b32_e32 v22, v24, v27
	v_lshl_or_b32 v6, v6, 9, 0x7c00
	v_cndmask_b32_e64 v15, 0x7c00, v15, s0
	v_cmp_eq_u32_e64 s0, 0x40f, v18
	v_and_or_b32 v4, 0x1ff, v5, v4
	v_cvt_f32_f16_e32 v24, v25
	v_lshrrev_b32_e32 v18, 16, v7
	v_bfe_u32 v25, v5, 20, 11
	v_cndmask_b32_e64 v15, v15, v6, s0
	v_cmp_ne_u32_e64 s0, v22, v23
	v_cvt_f64_f32_e32 v[6:7], v24
	v_add_nc_u32_e32 v23, 0xfffffc10, v26
	v_lshrrev_b32_e32 v24, 8, v5
	v_and_or_b32 v15, 0x8000, v18, v15
	v_cndmask_b32_e64 v22, 0, 1, s0
	v_cmp_ne_u32_e64 s0, 0, v4
	v_lshl_or_b32 v15, v15, 16, v19
	v_or_b32_e32 v18, v27, v22
	v_cndmask_b32_e64 v4, 0, 1, s0
	v_lshl_or_b32 v22, v23, 12, v10
	v_cmp_gt_i32_e64 s0, 1, v23
	v_and_or_b32 v4, 0xffe, v24, v4
	v_sub_nc_u32_e32 v24, 0x3f1, v25
	v_cndmask_b32_e64 v18, v22, v18, s0
	v_or_b32_e32 v22, 0x1000, v4
	v_med3_i32 v24, v24, 0, 13
	v_and_b32_e32 v19, 7, v18
	v_mul_f64 v[0:1], v[6:7], s[4:5]
	v_add_co_u32 v6, s0, v12, s6
	v_lshrrev_b32_e32 v20, v24, v22
	v_add_co_ci_u32_e64 v7, s0, s3, v13, s0
	v_cmp_lt_i32_e64 s0, 5, v19
	v_cmp_eq_u32_e64 s1, 3, v19
	v_lshlrev_b32_e32 v12, v24, v20
	v_mul_f16_sdwa v13, v56, v16 dst_sel:DWORD dst_unused:UNUSED_PAD src0_sel:WORD_1 src1_sel:DWORD
	v_lshrrev_b32_e32 v16, 2, v18
	global_store_dword v[6:7], v15, off
	s_or_b32 s0, s1, s0
	v_cmp_ne_u32_e64 s2, v12, v22
	v_fma_f16 v13, v56, v14, -v13
	v_add_co_ci_u32_e64 v16, s0, 0, v16, s0
	v_add_nc_u32_e32 v14, 0xfffffc10, v25
	v_cndmask_b32_e64 v12, 0, 1, s2
	v_cmp_ne_u32_e64 s0, 0, v10
	v_cvt_f32_f16_e32 v13, v13
	v_lshl_or_b32 v19, v14, 12, v4
	v_or_b32_e32 v18, v20, v12
	v_cndmask_b32_e64 v10, 0, 1, s0
	v_cmp_gt_i32_e64 s0, 1, v14
	v_cvt_f64_f32_e32 v[12:13], v13
	v_and_or_b32 v0, 0x1ff, v1, v0
	v_lshrrev_b32_e32 v20, 8, v1
	v_lshl_or_b32 v10, v10, 9, 0x7c00
	v_cndmask_b32_e64 v18, v19, v18, s0
	v_cmp_gt_i32_e64 s0, 31, v23
	v_bfe_u32 v21, v1, 20, 11
	v_and_b32_e32 v19, 7, v18
	v_cndmask_b32_e64 v16, 0x7c00, v16, s0
	v_cmp_ne_u32_e64 s0, 0, v0
	v_lshrrev_b32_e32 v18, 2, v18
	v_cmp_eq_u32_e64 s1, 3, v19
	v_cndmask_b32_e64 v0, 0, 1, s0
	v_cmp_eq_u32_e64 s0, 0x40f, v23
	v_and_or_b32 v0, 0xffe, v20, v0
	v_cndmask_b32_e64 v10, v16, v10, s0
	v_cmp_lt_i32_e64 s0, 5, v19
	v_lshrrev_b32_e32 v19, 16, v17
	v_mul_f64 v[12:13], v[12:13], s[4:5]
	v_sub_nc_u32_e32 v16, 0x3f1, v21
	v_or_b32_e32 v20, 0x1000, v0
	s_or_b32 s0, s1, s0
	v_mul_f16_sdwa v22, v55, v19 dst_sel:DWORD dst_unused:UNUSED_PAD src0_sel:WORD_1 src1_sel:DWORD
	v_add_co_ci_u32_e64 v18, s0, 0, v18, s0
	v_cmp_ne_u32_e64 s0, 0, v4
	v_med3_i32 v16, v16, 0, 13
	v_fmac_f16_e32 v22, v55, v17
	v_and_or_b32 v10, 0x8000, v11, v10
	v_mul_f16_sdwa v17, v55, v17 dst_sel:DWORD dst_unused:UNUSED_PAD src0_sel:WORD_1 src1_sel:DWORD
	v_cndmask_b32_e64 v4, 0, 1, s0
	v_cmp_gt_i32_e64 s0, 31, v14
	v_lshrrev_b32_e32 v23, v16, v20
	v_cvt_f32_f16_e32 v22, v22
	v_and_b32_e32 v10, 0xffff, v10
	v_lshl_or_b32 v4, v4, 9, 0x7c00
	v_cndmask_b32_e64 v18, 0x7c00, v18, s0
	v_cmp_eq_u32_e64 s0, 0x40f, v14
	v_lshlrev_b32_e32 v16, v16, v23
	v_and_or_b32 v12, 0x1ff, v13, v12
	v_cndmask_b32_e64 v14, v18, v4, s0
	v_lshrrev_b32_e32 v18, 16, v5
	v_cvt_f64_f32_e32 v[4:5], v22
	v_cmp_ne_u32_e64 s0, v16, v20
	v_add_nc_u32_e32 v20, 0xfffffc10, v21
	v_bfe_u32 v21, v13, 20, 11
	v_and_or_b32 v11, 0x8000, v18, v14
	v_lshrrev_b32_e32 v18, 8, v13
	v_cndmask_b32_e64 v16, 0, 1, s0
	v_cmp_ne_u32_e64 s0, 0, v12
	v_sub_nc_u32_e32 v15, 0x3f1, v21
	v_lshl_or_b32 v10, v11, 16, v10
	v_lshrrev_b32_e32 v13, 16, v13
	v_or_b32_e32 v14, v23, v16
	v_cndmask_b32_e64 v12, 0, 1, s0
	v_lshl_or_b32 v16, v20, 12, v0
	v_cmp_gt_i32_e64 s0, 1, v20
	v_med3_i32 v15, v15, 0, 13
	v_and_or_b32 v12, 0xffe, v18, v12
	v_cndmask_b32_e64 v14, v16, v14, s0
	v_add_co_u32 v6, s0, v6, s6
	v_mul_f64 v[4:5], v[4:5], s[4:5]
	v_or_b32_e32 v16, 0x1000, v12
	v_and_b32_e32 v11, 7, v14
	v_add_co_ci_u32_e64 v7, s0, s3, v7, s0
	v_lshrrev_b32_e32 v18, v15, v16
	v_cmp_lt_i32_e64 s0, 5, v11
	v_cmp_eq_u32_e64 s1, 3, v11
	global_store_dword v[6:7], v10, off
	v_lshrrev_b32_e32 v10, 2, v14
	v_lshlrev_b32_e32 v14, v15, v18
	v_fma_f16 v15, v55, v19, -v17
	s_or_b32 s0, s1, s0
	v_add_nc_u32_e32 v19, 0xfffffc10, v21
	v_add_co_ci_u32_e64 v17, s0, 0, v10, s0
	v_cmp_ne_u32_e64 s0, v14, v16
	ds_read2_b32 v[10:11], v46 offset0:150 offset1:165
	v_cvt_f32_f16_e32 v14, v15
	v_cndmask_b32_e64 v16, 0, 1, s0
	v_and_or_b32 v4, 0x1ff, v5, v4
	v_cmp_gt_i32_e64 s0, 31, v20
	v_cvt_f64_f32_e32 v[14:15], v14
	v_lshrrev_b32_e32 v21, 8, v5
	v_or_b32_e32 v16, v18, v16
	v_lshl_or_b32 v18, v19, 12, v12
	v_cndmask_b32_e64 v17, 0x7c00, v17, s0
	v_cmp_ne_u32_e64 s0, 0, v4
	v_bfe_u32 v22, v5, 20, 11
	v_cndmask_b32_e64 v4, 0, 1, s0
	v_cmp_ne_u32_e64 s0, 0, v0
	v_and_or_b32 v4, 0xffe, v21, v4
	v_cndmask_b32_e64 v0, 0, 1, s0
	v_cmp_gt_i32_e64 s0, 1, v19
	s_waitcnt lgkmcnt(0)
	v_lshrrev_b32_e32 v21, 16, v10
	v_or_b32_e32 v24, 0x1000, v4
	v_lshl_or_b32 v0, v0, 9, 0x7c00
	v_cndmask_b32_e64 v16, v18, v16, s0
	v_sub_nc_u32_e32 v18, 0x3f1, v22
	v_cmp_eq_u32_e64 s0, 0x40f, v20
	v_mul_f16_sdwa v25, v54, v21 dst_sel:DWORD dst_unused:UNUSED_PAD src0_sel:WORD_1 src1_sel:DWORD
	v_mul_f64 v[14:15], v[14:15], s[4:5]
	v_and_b32_e32 v23, 7, v16
	v_med3_i32 v18, v18, 0, 13
	v_cndmask_b32_e64 v17, v17, v0, s0
	v_lshrrev_b32_e32 v0, 2, v16
	v_fmac_f16_e32 v25, v54, v10
	v_cmp_lt_i32_e64 s0, 5, v23
	v_cmp_eq_u32_e64 s1, 3, v23
	v_lshrrev_b32_e32 v20, v18, v24
	v_lshrrev_b32_e32 v23, 16, v1
	v_cvt_f32_f16_e32 v1, v25
	v_add_nc_u32_e32 v22, 0xfffffc10, v22
	s_or_b32 s0, s1, s0
	v_lshlrev_b32_e32 v16, v18, v20
	v_add_co_ci_u32_e64 v18, s0, 0, v0, s0
	v_cmp_ne_u32_e64 s0, 0, v12
	v_cvt_f64_f32_e32 v[0:1], v1
	v_and_or_b32 v17, 0x8000, v23, v17
	v_mul_f16_sdwa v10, v54, v10 dst_sel:DWORD dst_unused:UNUSED_PAD src0_sel:WORD_1 src1_sel:DWORD
	v_lshrrev_b32_e32 v25, 16, v11
	v_cndmask_b32_e64 v12, 0, 1, s0
	v_cmp_ne_u32_e64 s0, v16, v24
	v_and_or_b32 v14, 0x1ff, v15, v14
	v_and_b32_e32 v17, 0xffff, v17
	v_fma_f16 v10, v54, v21, -v10
	v_lshl_or_b32 v12, v12, 9, 0x7c00
	v_cndmask_b32_e64 v16, 0, 1, s0
	v_cmp_gt_i32_e64 s0, 31, v19
	v_cvt_f32_f16_e32 v10, v10
	v_or_b32_e32 v16, v20, v16
	v_cndmask_b32_e64 v18, 0x7c00, v18, s0
	v_cmp_eq_u32_e64 s0, 0x40f, v19
	v_lshl_or_b32 v20, v22, 12, v4
	v_bfe_u32 v19, v15, 20, 11
	v_cndmask_b32_e64 v12, v18, v12, s0
	v_cmp_gt_i32_e64 s0, 1, v22
	v_lshrrev_b32_e32 v18, 8, v15
	v_mul_f64 v[0:1], v[0:1], s[4:5]
	v_lshrrev_b32_e32 v15, 16, v15
	v_and_or_b32 v12, 0x8000, v13, v12
	v_cndmask_b32_e64 v16, v20, v16, s0
	v_cmp_ne_u32_e64 s0, 0, v14
	v_lshl_or_b32 v17, v12, 16, v17
	v_and_b32_e32 v20, 7, v16
	v_cndmask_b32_e64 v14, 0, 1, s0
	v_lshrrev_b32_e32 v16, 2, v16
	v_cmp_lt_i32_e64 s0, 5, v20
	v_and_or_b32 v14, 0xffe, v18, v14
	v_sub_nc_u32_e32 v18, 0x3f1, v19
	v_cmp_eq_u32_e64 s1, 3, v20
	v_or_b32_e32 v13, 0x1000, v14
	v_med3_i32 v18, v18, 0, 13
	s_or_b32 s0, s1, s0
	v_and_or_b32 v0, 0x1ff, v1, v0
	v_add_co_ci_u32_e64 v16, s0, 0, v16, s0
	v_lshrrev_b32_e32 v20, v18, v13
	v_cmp_gt_i32_e64 s0, 31, v22
	v_bfe_u32 v21, v1, 20, 11
	v_lshlrev_b32_e32 v12, v18, v20
	v_cndmask_b32_e64 v16, 0x7c00, v16, s0
	v_cmp_ne_u32_e64 s0, v12, v13
	v_cvt_f64_f32_e32 v[12:13], v10
	v_add_nc_u32_e32 v10, 0xfffffc10, v19
	v_lshrrev_b32_e32 v19, 8, v1
	v_lshrrev_b32_e32 v1, 16, v1
	v_cndmask_b32_e64 v18, 0, 1, s0
	v_cmp_ne_u32_e64 s0, 0, v0
	v_or_b32_e32 v18, v20, v18
	v_cndmask_b32_e64 v0, 0, 1, s0
	v_cmp_ne_u32_e64 s0, 0, v4
	v_lshl_or_b32 v20, v10, 12, v14
	v_and_or_b32 v0, 0xffe, v19, v0
	v_cndmask_b32_e64 v4, 0, 1, s0
	v_cmp_gt_i32_e64 s0, 1, v10
	v_sub_nc_u32_e32 v19, 0x3f1, v21
	v_lshl_or_b32 v4, v4, 9, 0x7c00
	v_cndmask_b32_e64 v18, v20, v18, s0
	v_cmp_eq_u32_e64 s0, 0x40f, v22
	v_or_b32_e32 v20, 0x1000, v0
	v_med3_i32 v19, v19, 0, 13
	v_lshrrev_b32_e32 v22, 16, v5
	v_and_b32_e32 v23, 7, v18
	v_cndmask_b32_e64 v16, v16, v4, s0
	v_mul_f64 v[4:5], v[12:13], s[4:5]
	v_lshrrev_b32_e32 v24, v19, v20
	v_add_co_u32 v6, s0, v6, s6
	v_add_co_ci_u32_e64 v7, s0, s3, v7, s0
	v_lshlrev_b32_e32 v13, v19, v24
	v_mul_f16_sdwa v12, v53, v25 dst_sel:DWORD dst_unused:UNUSED_PAD src0_sel:WORD_1 src1_sel:DWORD
	v_cmp_lt_i32_e64 s0, 5, v23
	v_cmp_eq_u32_e64 s1, 3, v23
	v_lshrrev_b32_e32 v18, 2, v18
	v_cmp_ne_u32_e64 s2, v13, v20
	v_fmac_f16_e32 v12, v53, v11
	v_add_nc_u32_e32 v19, 0xfffffc10, v21
	s_or_b32 s0, s1, s0
	v_and_or_b32 v16, 0x8000, v22, v16
	v_add_co_ci_u32_e64 v18, s0, 0, v18, s0
	v_cndmask_b32_e64 v13, 0, 1, s2
	v_cmp_ne_u32_e64 s0, 0, v14
	v_cvt_f32_f16_e32 v12, v12
	v_lshl_or_b32 v21, v19, 12, v0
	v_and_or_b32 v4, 0x1ff, v5, v4
	v_or_b32_e32 v20, v24, v13
	v_cndmask_b32_e64 v14, 0, 1, s0
	v_cmp_gt_i32_e64 s0, 1, v19
	v_cvt_f64_f32_e32 v[12:13], v12
	v_bfe_u32 v22, v5, 20, 11
	v_and_b32_e32 v16, 0xffff, v16
	v_lshl_or_b32 v14, v14, 9, 0x7c00
	v_cndmask_b32_e64 v20, v21, v20, s0
	v_cmp_ne_u32_e64 s0, 0, v4
	v_lshrrev_b32_e32 v21, 8, v5
	v_mul_f16_sdwa v11, v53, v11 dst_sel:DWORD dst_unused:UNUSED_PAD src0_sel:WORD_1 src1_sel:DWORD
	v_and_b32_e32 v23, 7, v20
	v_cndmask_b32_e64 v4, 0, 1, s0
	v_cmp_gt_i32_e64 s0, 31, v10
	v_fma_f16 v11, v53, v25, -v11
	v_cmp_eq_u32_e64 s1, 3, v23
	v_and_or_b32 v4, 0xffe, v21, v4
	v_cndmask_b32_e64 v18, 0x7c00, v18, s0
	v_cmp_eq_u32_e64 s0, 0x40f, v10
	ds_read_b32 v21, v46 offset:720
	v_cndmask_b32_e64 v10, v18, v14, s0
	v_sub_nc_u32_e32 v14, 0x3f1, v22
	v_cmp_lt_i32_e64 s0, 5, v23
	v_mul_f64 v[12:13], v[12:13], s[4:5]
	v_or_b32_e32 v18, 0x1000, v4
	v_and_or_b32 v10, 0x8000, v15, v10
	v_lshrrev_b32_e32 v15, 2, v20
	v_med3_i32 v14, v14, 0, 13
	s_or_b32 s0, s1, s0
	v_lshl_or_b32 v16, v10, 16, v16
	v_add_co_ci_u32_e64 v15, s0, 0, v15, s0
	v_lshrrev_b32_e32 v20, v14, v18
	v_cmp_ne_u32_e64 s0, 0, v0
	v_lshlrev_b32_e32 v10, v14, v20
	v_cndmask_b32_e64 v0, 0, 1, s0
	v_cmp_gt_i32_e64 s0, 31, v19
	v_lshl_or_b32 v0, v0, 9, 0x7c00
	v_cndmask_b32_e64 v14, 0x7c00, v15, s0
	v_cmp_ne_u32_e64 s0, v10, v18
	v_and_or_b32 v12, 0x1ff, v13, v12
	v_add_nc_u32_e32 v18, 0xfffffc10, v22
	v_cndmask_b32_e64 v10, 0, 1, s0
	v_cmp_eq_u32_e64 s0, 0x40f, v19
	v_lshl_or_b32 v15, v18, 12, v4
	v_lshrrev_b32_e32 v19, 8, v13
	v_cndmask_b32_e64 v0, v14, v0, s0
	v_cmp_ne_u32_e64 s0, 0, v12
	v_or_b32_e32 v14, v20, v10
	v_cvt_f32_f16_e32 v10, v11
	v_bfe_u32 v20, v13, 20, 11
	v_and_or_b32 v27, 0x8000, v1, v0
	v_cndmask_b32_e64 v12, 0, 1, s0
	v_cmp_gt_i32_e64 s0, 1, v18
	v_cvt_f64_f32_e32 v[10:11], v10
	v_lshrrev_b32_e32 v13, 16, v13
	v_and_or_b32 v12, 0xffe, v19, v12
	v_cndmask_b32_e64 v22, v15, v14, s0
	v_sub_nc_u32_e32 v14, 0x3f1, v20
	s_waitcnt lgkmcnt(0)
	v_lshrrev_b32_e32 v19, 16, v21
	v_add_nc_u32_e32 v20, 0xfffffc10, v20
	v_or_b32_e32 v24, 0x1000, v12
	v_and_b32_e32 v23, 7, v22
	v_med3_i32 v25, v14, 0, 13
	v_mul_f16_sdwa v26, v52, v19 dst_sel:DWORD dst_unused:UNUSED_PAD src0_sel:WORD_1 src1_sel:DWORD
	v_add_co_u32 v14, s0, v6, s6
	v_add_co_ci_u32_e64 v15, s0, s3, v7, s0
	v_lshrrev_b32_e32 v28, v25, v24
	v_fmac_f16_e32 v26, v52, v21
	v_cmp_lt_i32_e64 s0, 5, v23
	v_cmp_eq_u32_e64 s1, 3, v23
	v_lshrrev_b32_e32 v22, 2, v22
	v_lshlrev_b32_e32 v23, v25, v28
	v_cvt_f32_f16_e32 v25, v26
	v_mul_f64 v[0:1], v[10:11], s[4:5]
	s_or_b32 s0, s1, s0
	v_mul_f16_sdwa v21, v52, v21 dst_sel:DWORD dst_unused:UNUSED_PAD src0_sel:WORD_1 src1_sel:DWORD
	v_add_co_ci_u32_e64 v22, s0, 0, v22, s0
	v_cmp_ne_u32_e64 s0, v23, v24
	v_cvt_f64_f32_e32 v[10:11], v25
	v_lshl_or_b32 v24, v20, 12, v12
	v_fma_f16 v19, v52, v19, -v21
	v_cndmask_b32_e64 v23, 0, 1, s0
	v_cmp_ne_u32_e64 s0, 0, v4
	v_cvt_f32_f16_e32 v19, v19
	v_or_b32_e32 v23, v28, v23
	v_cndmask_b32_e64 v4, 0, 1, s0
	v_cmp_gt_i32_e64 s0, 31, v18
	v_lshl_or_b32 v4, v4, 9, 0x7c00
	v_cndmask_b32_e64 v21, 0x7c00, v22, s0
	v_cmp_gt_i32_e64 s0, 1, v20
	v_and_or_b32 v0, 0x1ff, v1, v0
	v_cndmask_b32_e64 v22, v24, v23, s0
	v_cmp_eq_u32_e64 s0, 0x40f, v18
	v_mul_f64 v[10:11], v[10:11], s[4:5]
	v_lshrrev_b32_e32 v23, 8, v1
	v_bfe_u32 v24, v1, 20, 11
	v_lshrrev_b32_e32 v1, 16, v1
	v_cndmask_b32_e64 v18, v21, v4, s0
	v_lshrrev_b32_e32 v21, 16, v5
	v_cvt_f64_f32_e32 v[4:5], v19
	v_cmp_ne_u32_e64 s0, 0, v0
	v_and_b32_e32 v19, 7, v22
	v_and_or_b32 v18, 0x8000, v21, v18
	v_and_b32_e32 v21, 0xffff, v27
	v_cndmask_b32_e64 v0, 0, 1, s0
	v_cmp_lt_i32_e64 s0, 5, v19
	v_cmp_eq_u32_e64 s1, 3, v19
	v_lshrrev_b32_e32 v19, 2, v22
	v_lshl_or_b32 v18, v18, 16, v21
	v_and_or_b32 v0, 0xffe, v23, v0
	v_sub_nc_u32_e32 v23, 0x3f1, v24
	s_or_b32 s0, s1, s0
	v_add_co_ci_u32_e64 v19, s0, 0, v19, s0
	v_or_b32_e32 v21, 0x1000, v0
	v_med3_i32 v22, v23, 0, 13
	v_cmp_ne_u32_e64 s0, 0, v12
	v_and_or_b32 v10, 0x1ff, v11, v10
	v_lshrrev_b32_e32 v25, 8, v11
	v_mul_f64 v[4:5], v[4:5], s[4:5]
	v_lshrrev_b32_e32 v23, v22, v21
	v_cndmask_b32_e64 v12, 0, 1, s0
	v_cmp_gt_i32_e64 s0, 31, v20
	v_bfe_u32 v26, v11, 20, 11
	v_lshrrev_b32_e32 v11, 16, v11
	v_lshlrev_b32_e32 v22, v22, v23
	v_lshl_or_b32 v12, v12, 9, 0x7c00
	v_cndmask_b32_e64 v19, 0x7c00, v19, s0
	v_cmp_ne_u32_e64 s0, 0, v10
	v_cndmask_b32_e64 v10, 0, 1, s0
	v_cmp_ne_u32_e64 s0, v22, v21
	v_add_nc_u32_e32 v22, 0xfffffc10, v24
	v_sub_nc_u32_e32 v24, 0x3f1, v26
	v_and_or_b32 v10, 0xffe, v25, v10
	v_cndmask_b32_e64 v21, 0, 1, s0
	v_cmp_eq_u32_e64 s0, 0x40f, v20
	v_lshl_or_b32 v20, v22, 12, v0
	v_and_or_b32 v4, 0x1ff, v5, v4
	v_bfe_u32 v25, v5, 20, 11
	v_cndmask_b32_e64 v12, v19, v12, s0
	v_or_b32_e32 v19, v23, v21
	v_or_b32_e32 v21, 0x1000, v10
	v_med3_i32 v23, v24, 0, 13
	v_cmp_gt_i32_e64 s0, 1, v22
	v_lshrrev_b32_e32 v24, 8, v5
	v_and_or_b32 v12, 0x8000, v13, v12
	v_sub_nc_u32_e32 v13, 0x3f1, v25
	v_cndmask_b32_e64 v19, v20, v19, s0
	v_lshrrev_b32_e32 v20, v23, v21
	v_cmp_ne_u32_e64 s0, 0, v4
	v_med3_i32 v13, v13, 0, 13
	v_and_b32_e32 v27, 7, v19
	v_lshlrev_b32_e32 v23, v23, v20
	v_cndmask_b32_e64 v4, 0, 1, s0
	v_lshrrev_b32_e32 v19, 2, v19
	v_cmp_lt_i32_e64 s0, 5, v27
	v_cmp_ne_u32_e64 s1, v23, v21
	v_and_or_b32 v4, 0xffe, v24, v4
	v_add_nc_u32_e32 v24, 0xfffffc10, v26
	v_cndmask_b32_e64 v21, 0, 1, s1
	v_cmp_eq_u32_e64 s1, 3, v27
	v_or_b32_e32 v23, 0x1000, v4
	v_lshl_or_b32 v26, v24, 12, v10
	v_or_b32_e32 v20, v20, v21
	s_or_b32 s0, s1, s0
	v_lshrrev_b32_e32 v21, v13, v23
	v_add_co_ci_u32_e64 v19, s0, 0, v19, s0
	v_cmp_gt_i32_e64 s0, 1, v24
	v_lshlrev_b32_e32 v13, v13, v21
	v_cndmask_b32_e64 v20, v26, v20, s0
	v_cmp_ne_u32_e64 s0, 0, v0
	v_cndmask_b32_e64 v0, 0, 1, s0
	v_cmp_ne_u32_e64 s0, v13, v23
	v_add_nc_u32_e32 v23, 0xfffffc10, v25
	v_and_b32_e32 v25, 7, v20
	v_lshl_or_b32 v0, v0, 9, 0x7c00
	v_cndmask_b32_e64 v13, 0, 1, s0
	v_cmp_gt_i32_e64 s0, 31, v22
	v_cmp_gt_i32_e64 s2, 1, v23
	v_cmp_eq_u32_e64 s1, 3, v25
	v_or_b32_e32 v13, v21, v13
	v_lshl_or_b32 v21, v23, 12, v4
	v_cndmask_b32_e64 v19, 0x7c00, v19, s0
	v_cmp_lt_i32_e64 s0, 5, v25
	v_cndmask_b32_e64 v13, v21, v13, s2
	v_cmp_eq_u32_e64 s2, 0x40f, v22
	s_or_b32 s0, s1, s0
	v_cndmask_b32_e64 v0, v19, v0, s2
	v_lshrrev_b32_e32 v19, 2, v20
	v_and_b32_e32 v20, 7, v13
	v_lshrrev_b32_e32 v13, 2, v13
	v_cmp_gt_i32_e64 s2, 31, v24
	v_and_or_b32 v0, 0x8000, v1, v0
	v_add_co_ci_u32_e64 v19, s0, 0, v19, s0
	v_cmp_ne_u32_e64 s0, 0, v10
	v_cmp_eq_u32_e64 s1, 3, v20
	v_and_b32_e32 v1, 0xffff, v12
	v_cndmask_b32_e64 v19, 0x7c00, v19, s2
	v_lshrrev_b32_e32 v12, 16, v5
	v_cndmask_b32_e64 v10, 0, 1, s0
	v_cmp_lt_i32_e64 s0, 5, v20
	v_lshl_or_b32 v10, v10, 9, 0x7c00
	s_or_b32 s0, s1, s0
	v_add_co_ci_u32_e64 v13, s0, 0, v13, s0
	v_cmp_ne_u32_e64 s0, 0, v4
	v_cndmask_b32_e64 v4, 0, 1, s0
	v_cmp_eq_u32_e64 s0, 0x40f, v24
	v_lshl_or_b32 v4, v4, 9, 0x7c00
	v_cndmask_b32_e64 v10, v19, v10, s0
	v_cmp_gt_i32_e64 s0, 31, v23
	v_and_or_b32 v10, 0x8000, v11, v10
	v_cndmask_b32_e64 v13, 0x7c00, v13, s0
	v_cmp_eq_u32_e64 s0, 0x40f, v23
	v_cndmask_b32_e64 v11, v13, v4, s0
	v_add_co_u32 v4, s0, v14, s6
	v_add_co_ci_u32_e64 v5, s0, s3, v15, s0
	v_lshl_or_b32 v13, v0, 16, v1
	v_and_or_b32 v0, 0x8000, v12, v11
	v_and_b32_e32 v1, 0xffff, v10
	v_add_co_u32 v10, s0, v4, s6
	v_add_co_ci_u32_e64 v11, s0, s3, v5, s0
	v_lshl_or_b32 v12, v0, 16, v1
	v_add_co_u32 v0, s0, v10, s6
	v_add_co_ci_u32_e64 v1, s0, s3, v11, s0
	global_store_dword v[6:7], v17, off
	global_store_dword v[14:15], v16, off
	;; [unrolled: 1-line block ×5, first 2 shown]
	s_and_b32 exec_lo, exec_lo, vcc_lo
	s_cbranch_execz .LBB0_15
; %bb.14:
	global_load_dword v4, v[8:9], off offset:52
	ds_read_b32 v5, v67 offset:52
	v_mad_u64_u32 v[0:1], null, 0xfffffd64, s8, v[0:1]
	s_mul_hi_u32 s3, s8, 0x78
	s_mul_i32 s6, s8, 0x78
	s_waitcnt lgkmcnt(0)
	v_lshrrev_b32_e32 v6, 16, v5
	s_waitcnt vmcnt(0)
	v_mul_f16_sdwa v7, v6, v4 dst_sel:DWORD dst_unused:UNUSED_PAD src0_sel:DWORD src1_sel:WORD_1
	v_mul_f16_sdwa v10, v5, v4 dst_sel:DWORD dst_unused:UNUSED_PAD src0_sel:DWORD src1_sel:WORD_1
	v_fmac_f16_e32 v7, v5, v4
	v_fma_f16 v4, v4, v6, -v10
	v_cvt_f32_f16_e32 v5, v7
	v_cvt_f32_f16_e32 v6, v4
	v_cvt_f64_f32_e32 v[4:5], v5
	v_cvt_f64_f32_e32 v[6:7], v6
	v_mul_f64 v[4:5], v[4:5], s[4:5]
	v_mul_f64 v[6:7], v[6:7], s[4:5]
	v_and_or_b32 v4, 0x1ff, v5, v4
	v_and_or_b32 v6, 0x1ff, v7, v6
	v_lshrrev_b32_e32 v10, 8, v5
	v_bfe_u32 v11, v5, 20, 11
	v_lshrrev_b32_e32 v12, 8, v7
	v_cmp_ne_u32_e32 vcc_lo, 0, v4
	v_bfe_u32 v13, v7, 20, 11
	v_lshrrev_b32_e32 v5, 16, v5
	v_sub_nc_u32_e32 v14, 0x3f1, v11
	v_add_nc_u32_e32 v11, 0xfffffc10, v11
	v_cndmask_b32_e64 v4, 0, 1, vcc_lo
	v_cmp_ne_u32_e32 vcc_lo, 0, v6
	v_lshrrev_b32_e32 v7, 16, v7
	v_and_or_b32 v4, 0xffe, v10, v4
	v_cndmask_b32_e64 v6, 0, 1, vcc_lo
	v_sub_nc_u32_e32 v10, 0x3f1, v13
	v_add_nc_u32_e32 v13, 0xfffffc10, v13
	v_and_or_b32 v6, 0xffe, v12, v6
	v_med3_i32 v12, v14, 0, 13
	v_or_b32_e32 v14, 0x1000, v4
	v_med3_i32 v10, v10, 0, 13
	v_or_b32_e32 v15, 0x1000, v6
	v_lshrrev_b32_e32 v16, v12, v14
	v_lshrrev_b32_e32 v17, v10, v15
	v_lshlrev_b32_e32 v12, v12, v16
	v_lshlrev_b32_e32 v10, v10, v17
	v_cmp_ne_u32_e32 vcc_lo, v12, v14
	v_lshl_or_b32 v14, v11, 12, v4
	v_cndmask_b32_e64 v12, 0, 1, vcc_lo
	v_cmp_ne_u32_e32 vcc_lo, v10, v15
	v_lshl_or_b32 v15, v13, 12, v6
	v_or_b32_e32 v12, v16, v12
	v_cndmask_b32_e64 v10, 0, 1, vcc_lo
	v_cmp_gt_i32_e32 vcc_lo, 1, v11
	v_or_b32_e32 v10, v17, v10
	v_cndmask_b32_e32 v12, v14, v12, vcc_lo
	v_cmp_gt_i32_e32 vcc_lo, 1, v13
	v_and_b32_e32 v14, 7, v12
	v_cndmask_b32_e32 v10, v15, v10, vcc_lo
	v_cmp_ne_u32_e32 vcc_lo, 0, v4
	v_lshrrev_b32_e32 v12, 2, v12
	v_cmp_eq_u32_e64 s0, 3, v14
	v_and_b32_e32 v15, 7, v10
	v_cndmask_b32_e64 v4, 0, 1, vcc_lo
	v_cmp_ne_u32_e32 vcc_lo, 0, v6
	v_lshrrev_b32_e32 v10, 2, v10
	v_cmp_lt_i32_e64 s1, 5, v15
	v_cmp_eq_u32_e64 s2, 3, v15
	v_cndmask_b32_e64 v6, 0, 1, vcc_lo
	v_cmp_lt_i32_e32 vcc_lo, 5, v14
	v_lshl_or_b32 v4, v4, 9, 0x7c00
	v_lshl_or_b32 v6, v6, 9, 0x7c00
	s_or_b32 vcc_lo, s0, vcc_lo
	s_mul_i32 s0, s9, 0xfffffd64
	v_add_co_ci_u32_e32 v12, vcc_lo, 0, v12, vcc_lo
	s_or_b32 vcc_lo, s2, s1
	s_sub_i32 s0, s0, s8
	v_add_co_ci_u32_e32 v10, vcc_lo, 0, v10, vcc_lo
	v_cmp_gt_i32_e32 vcc_lo, 31, v11
	v_add_nc_u32_e32 v1, s0, v1
	v_cndmask_b32_e32 v12, 0x7c00, v12, vcc_lo
	v_cmp_gt_i32_e32 vcc_lo, 31, v13
	v_cndmask_b32_e32 v10, 0x7c00, v10, vcc_lo
	v_cmp_eq_u32_e32 vcc_lo, 0x40f, v11
	v_cndmask_b32_e32 v4, v12, v4, vcc_lo
	v_cmp_eq_u32_e32 vcc_lo, 0x40f, v13
	v_and_or_b32 v4, 0x8000, v5, v4
	v_cndmask_b32_e32 v6, v10, v6, vcc_lo
	v_and_b32_e32 v4, 0xffff, v4
	v_and_or_b32 v5, 0x8000, v7, v6
	v_lshl_or_b32 v4, v5, 16, v4
	global_store_dword v[0:1], v4, off
	global_load_dword v6, v[8:9], off offset:112
	ds_read2_b32 v[4:5], v46 offset0:28 offset1:43
	s_waitcnt lgkmcnt(0)
	v_lshrrev_b32_e32 v7, 16, v4
	s_waitcnt vmcnt(0)
	v_mul_f16_sdwa v10, v7, v6 dst_sel:DWORD dst_unused:UNUSED_PAD src0_sel:DWORD src1_sel:WORD_1
	v_mul_f16_sdwa v11, v4, v6 dst_sel:DWORD dst_unused:UNUSED_PAD src0_sel:DWORD src1_sel:WORD_1
	v_fmac_f16_e32 v10, v4, v6
	v_fma_f16 v4, v6, v7, -v11
	v_cvt_f32_f16_e32 v6, v10
	v_cvt_f32_f16_e32 v4, v4
	v_cvt_f64_f32_e32 v[6:7], v6
	v_cvt_f64_f32_e32 v[10:11], v4
	v_mul_f64 v[6:7], v[6:7], s[4:5]
	v_mul_f64 v[10:11], v[10:11], s[4:5]
	v_and_or_b32 v4, 0x1ff, v7, v6
	v_and_or_b32 v10, 0x1ff, v11, v10
	v_lshrrev_b32_e32 v6, 8, v7
	v_bfe_u32 v14, v7, 20, 11
	v_lshrrev_b32_e32 v12, 8, v11
	v_cmp_ne_u32_e32 vcc_lo, 0, v4
	v_bfe_u32 v15, v11, 20, 11
	v_lshrrev_b32_e32 v7, 16, v7
	v_sub_nc_u32_e32 v13, 0x3f1, v14
	v_lshrrev_b32_e32 v11, 16, v11
	v_cndmask_b32_e64 v4, 0, 1, vcc_lo
	v_cmp_ne_u32_e32 vcc_lo, 0, v10
	v_sub_nc_u32_e32 v16, 0x3f1, v15
	v_add_nc_u32_e32 v15, 0xfffffc10, v15
	v_and_or_b32 v6, 0xffe, v6, v4
	v_cndmask_b32_e64 v10, 0, 1, vcc_lo
	v_med3_i32 v4, v13, 0, 13
	v_med3_i32 v16, v16, 0, 13
	v_or_b32_e32 v17, 0x1000, v6
	v_and_or_b32 v10, 0xffe, v12, v10
	v_mad_u64_u32 v[12:13], null, s8, v51, 0
	v_lshrrev_b32_e32 v19, v4, v17
	v_or_b32_e32 v18, 0x1000, v10
	v_lshlrev_b32_e32 v21, v4, v19
	v_lshrrev_b32_e32 v20, v16, v18
	v_mov_b32_e32 v4, v13
	v_cmp_ne_u32_e32 vcc_lo, v21, v17
	v_lshlrev_b32_e32 v13, v16, v20
	v_add_nc_u32_e32 v16, 0xfffffc10, v14
	v_cndmask_b32_e64 v17, 0, 1, vcc_lo
	v_cmp_ne_u32_e32 vcc_lo, v13, v18
	v_mad_u64_u32 v[13:14], null, s9, v51, v[4:5]
	v_lshl_or_b32 v4, v16, 12, v6
	v_or_b32_e32 v14, v19, v17
	v_cndmask_b32_e64 v18, 0, 1, vcc_lo
	v_cmp_gt_i32_e32 vcc_lo, 1, v16
	v_lshl_or_b32 v17, v15, 12, v10
	v_or_b32_e32 v18, v20, v18
	v_cndmask_b32_e32 v4, v4, v14, vcc_lo
	v_cmp_gt_i32_e32 vcc_lo, 1, v15
	v_cndmask_b32_e32 v14, v17, v18, vcc_lo
	v_cmp_ne_u32_e32 vcc_lo, 0, v6
	v_and_b32_e32 v17, 7, v4
	v_lshrrev_b32_e32 v4, 2, v4
	v_and_b32_e32 v18, 7, v14
	v_cndmask_b32_e64 v6, 0, 1, vcc_lo
	v_cmp_ne_u32_e32 vcc_lo, 0, v10
	v_cmp_eq_u32_e64 s0, 3, v17
	v_lshrrev_b32_e32 v14, 2, v14
	v_cmp_lt_i32_e64 s1, 5, v18
	v_cmp_eq_u32_e64 s2, 3, v18
	v_cndmask_b32_e64 v10, 0, 1, vcc_lo
	v_cmp_lt_i32_e32 vcc_lo, 5, v17
	v_lshl_or_b32 v6, v6, 9, 0x7c00
	v_lshl_or_b32 v10, v10, 9, 0x7c00
	s_or_b32 vcc_lo, s0, vcc_lo
	v_add_co_ci_u32_e32 v4, vcc_lo, 0, v4, vcc_lo
	s_or_b32 vcc_lo, s2, s1
	v_add_co_ci_u32_e32 v14, vcc_lo, 0, v14, vcc_lo
	v_cmp_gt_i32_e32 vcc_lo, 31, v16
	v_cndmask_b32_e32 v4, 0x7c00, v4, vcc_lo
	v_cmp_gt_i32_e32 vcc_lo, 31, v15
	v_cndmask_b32_e32 v14, 0x7c00, v14, vcc_lo
	v_cmp_eq_u32_e32 vcc_lo, 0x40f, v16
	v_cndmask_b32_e32 v4, v4, v6, vcc_lo
	v_cmp_eq_u32_e32 vcc_lo, 0x40f, v15
	v_and_or_b32 v4, 0x8000, v7, v4
	v_cndmask_b32_e32 v10, v14, v10, vcc_lo
	v_lshlrev_b64 v[6:7], 2, v[12:13]
	v_and_b32_e32 v4, 0xffff, v4
	v_and_or_b32 v10, 0x8000, v11, v10
	v_add_co_u32 v6, vcc_lo, v2, v6
	v_add_co_ci_u32_e32 v7, vcc_lo, v3, v7, vcc_lo
	v_lshl_or_b32 v4, v10, 16, v4
	global_store_dword v[6:7], v4, off
	global_load_dword v4, v[8:9], off offset:172
	v_lshrrev_b32_e32 v6, 16, v5
	s_waitcnt vmcnt(0)
	v_mul_f16_sdwa v7, v6, v4 dst_sel:DWORD dst_unused:UNUSED_PAD src0_sel:DWORD src1_sel:WORD_1
	v_mul_f16_sdwa v10, v5, v4 dst_sel:DWORD dst_unused:UNUSED_PAD src0_sel:DWORD src1_sel:WORD_1
	v_fmac_f16_e32 v7, v5, v4
	v_fma_f16 v4, v4, v6, -v10
	v_cvt_f32_f16_e32 v5, v7
	v_cvt_f32_f16_e32 v6, v4
	v_cvt_f64_f32_e32 v[4:5], v5
	v_cvt_f64_f32_e32 v[6:7], v6
	v_mul_f64 v[4:5], v[4:5], s[4:5]
	v_mul_f64 v[6:7], v[6:7], s[4:5]
	v_and_or_b32 v4, 0x1ff, v5, v4
	v_and_or_b32 v6, 0x1ff, v7, v6
	v_lshrrev_b32_e32 v10, 8, v5
	v_bfe_u32 v11, v5, 20, 11
	v_lshrrev_b32_e32 v12, 8, v7
	v_cmp_ne_u32_e32 vcc_lo, 0, v4
	v_bfe_u32 v13, v7, 20, 11
	v_lshrrev_b32_e32 v5, 16, v5
	v_sub_nc_u32_e32 v14, 0x3f1, v11
	v_add_nc_u32_e32 v11, 0xfffffc10, v11
	v_cndmask_b32_e64 v4, 0, 1, vcc_lo
	v_cmp_ne_u32_e32 vcc_lo, 0, v6
	v_lshrrev_b32_e32 v7, 16, v7
	v_and_or_b32 v4, 0xffe, v10, v4
	v_cndmask_b32_e64 v6, 0, 1, vcc_lo
	v_sub_nc_u32_e32 v10, 0x3f1, v13
	v_add_nc_u32_e32 v13, 0xfffffc10, v13
	v_and_or_b32 v6, 0xffe, v12, v6
	v_med3_i32 v12, v14, 0, 13
	v_or_b32_e32 v14, 0x1000, v4
	v_med3_i32 v10, v10, 0, 13
	v_or_b32_e32 v15, 0x1000, v6
	v_lshrrev_b32_e32 v16, v12, v14
	v_lshrrev_b32_e32 v17, v10, v15
	v_lshlrev_b32_e32 v12, v12, v16
	v_lshlrev_b32_e32 v10, v10, v17
	v_cmp_ne_u32_e32 vcc_lo, v12, v14
	v_lshl_or_b32 v14, v11, 12, v4
	v_cndmask_b32_e64 v12, 0, 1, vcc_lo
	v_cmp_ne_u32_e32 vcc_lo, v10, v15
	v_lshl_or_b32 v15, v13, 12, v6
	v_or_b32_e32 v12, v16, v12
	v_cndmask_b32_e64 v10, 0, 1, vcc_lo
	v_cmp_gt_i32_e32 vcc_lo, 1, v11
	v_or_b32_e32 v10, v17, v10
	v_cndmask_b32_e32 v12, v14, v12, vcc_lo
	v_cmp_gt_i32_e32 vcc_lo, 1, v13
	v_and_b32_e32 v14, 7, v12
	v_cndmask_b32_e32 v10, v15, v10, vcc_lo
	v_cmp_ne_u32_e32 vcc_lo, 0, v4
	v_lshrrev_b32_e32 v12, 2, v12
	v_cmp_eq_u32_e64 s0, 3, v14
	v_and_b32_e32 v15, 7, v10
	v_cndmask_b32_e64 v4, 0, 1, vcc_lo
	v_cmp_ne_u32_e32 vcc_lo, 0, v6
	v_lshrrev_b32_e32 v10, 2, v10
	v_cmp_lt_i32_e64 s1, 5, v15
	v_cmp_eq_u32_e64 s2, 3, v15
	v_cndmask_b32_e64 v6, 0, 1, vcc_lo
	v_cmp_lt_i32_e32 vcc_lo, 5, v14
	v_lshl_or_b32 v4, v4, 9, 0x7c00
	v_lshl_or_b32 v6, v6, 9, 0x7c00
	s_or_b32 vcc_lo, s0, vcc_lo
	s_mul_i32 s0, s9, 0x78
	v_add_co_ci_u32_e32 v12, vcc_lo, 0, v12, vcc_lo
	s_or_b32 vcc_lo, s2, s1
	s_add_i32 s3, s3, s0
	v_add_co_ci_u32_e32 v10, vcc_lo, 0, v10, vcc_lo
	v_cmp_gt_i32_e32 vcc_lo, 31, v11
	v_cndmask_b32_e32 v12, 0x7c00, v12, vcc_lo
	v_cmp_gt_i32_e32 vcc_lo, 31, v13
	v_cndmask_b32_e32 v10, 0x7c00, v10, vcc_lo
	v_cmp_eq_u32_e32 vcc_lo, 0x40f, v11
	v_cndmask_b32_e32 v4, v12, v4, vcc_lo
	v_cmp_eq_u32_e32 vcc_lo, 0x40f, v13
	v_and_or_b32 v4, 0x8000, v5, v4
	v_cndmask_b32_e32 v6, v10, v6, vcc_lo
	v_add_co_u32 v0, vcc_lo, v0, s6
	v_add_co_ci_u32_e32 v1, vcc_lo, s3, v1, vcc_lo
	v_and_or_b32 v5, 0x8000, v7, v6
	v_and_b32_e32 v4, 0xffff, v4
	v_lshl_or_b32 v4, v5, 16, v4
	global_store_dword v[0:1], v4, off
	global_load_dword v6, v[8:9], off offset:232
	ds_read2_b32 v[4:5], v46 offset0:58 offset1:73
	s_waitcnt lgkmcnt(0)
	v_lshrrev_b32_e32 v7, 16, v4
	s_waitcnt vmcnt(0)
	v_mul_f16_sdwa v10, v7, v6 dst_sel:DWORD dst_unused:UNUSED_PAD src0_sel:DWORD src1_sel:WORD_1
	v_mul_f16_sdwa v11, v4, v6 dst_sel:DWORD dst_unused:UNUSED_PAD src0_sel:DWORD src1_sel:WORD_1
	v_fmac_f16_e32 v10, v4, v6
	v_fma_f16 v4, v6, v7, -v11
	v_cvt_f32_f16_e32 v6, v10
	v_cvt_f32_f16_e32 v4, v4
	v_cvt_f64_f32_e32 v[6:7], v6
	v_cvt_f64_f32_e32 v[10:11], v4
	v_mul_f64 v[6:7], v[6:7], s[4:5]
	v_mul_f64 v[10:11], v[10:11], s[4:5]
	v_and_or_b32 v4, 0x1ff, v7, v6
	v_and_or_b32 v10, 0x1ff, v11, v10
	v_lshrrev_b32_e32 v6, 8, v7
	v_bfe_u32 v14, v7, 20, 11
	v_lshrrev_b32_e32 v12, 8, v11
	v_cmp_ne_u32_e32 vcc_lo, 0, v4
	v_bfe_u32 v15, v11, 20, 11
	v_lshrrev_b32_e32 v7, 16, v7
	v_sub_nc_u32_e32 v13, 0x3f1, v14
	v_lshrrev_b32_e32 v11, 16, v11
	v_cndmask_b32_e64 v4, 0, 1, vcc_lo
	v_cmp_ne_u32_e32 vcc_lo, 0, v10
	v_sub_nc_u32_e32 v16, 0x3f1, v15
	v_add_nc_u32_e32 v15, 0xfffffc10, v15
	v_and_or_b32 v6, 0xffe, v6, v4
	v_cndmask_b32_e64 v10, 0, 1, vcc_lo
	v_med3_i32 v4, v13, 0, 13
	v_med3_i32 v16, v16, 0, 13
	v_or_b32_e32 v17, 0x1000, v6
	v_and_or_b32 v10, 0xffe, v12, v10
	v_mad_u64_u32 v[12:13], null, s8, v50, 0
	v_lshrrev_b32_e32 v19, v4, v17
	v_or_b32_e32 v18, 0x1000, v10
	v_lshlrev_b32_e32 v21, v4, v19
	v_lshrrev_b32_e32 v20, v16, v18
	v_mov_b32_e32 v4, v13
	v_cmp_ne_u32_e32 vcc_lo, v21, v17
	v_lshlrev_b32_e32 v13, v16, v20
	v_add_nc_u32_e32 v16, 0xfffffc10, v14
	v_cndmask_b32_e64 v17, 0, 1, vcc_lo
	v_cmp_ne_u32_e32 vcc_lo, v13, v18
	v_mad_u64_u32 v[13:14], null, s9, v50, v[4:5]
	v_lshl_or_b32 v4, v16, 12, v6
	v_or_b32_e32 v14, v19, v17
	v_cndmask_b32_e64 v18, 0, 1, vcc_lo
	v_cmp_gt_i32_e32 vcc_lo, 1, v16
	v_lshl_or_b32 v17, v15, 12, v10
	v_or_b32_e32 v18, v20, v18
	v_cndmask_b32_e32 v4, v4, v14, vcc_lo
	v_cmp_gt_i32_e32 vcc_lo, 1, v15
	v_cndmask_b32_e32 v14, v17, v18, vcc_lo
	v_cmp_ne_u32_e32 vcc_lo, 0, v6
	v_and_b32_e32 v17, 7, v4
	v_lshrrev_b32_e32 v4, 2, v4
	v_and_b32_e32 v18, 7, v14
	v_cndmask_b32_e64 v6, 0, 1, vcc_lo
	v_cmp_ne_u32_e32 vcc_lo, 0, v10
	v_cmp_eq_u32_e64 s0, 3, v17
	v_lshrrev_b32_e32 v14, 2, v14
	v_cmp_lt_i32_e64 s1, 5, v18
	v_cmp_eq_u32_e64 s2, 3, v18
	v_cndmask_b32_e64 v10, 0, 1, vcc_lo
	v_cmp_lt_i32_e32 vcc_lo, 5, v17
	v_lshl_or_b32 v6, v6, 9, 0x7c00
	v_lshl_or_b32 v10, v10, 9, 0x7c00
	s_or_b32 vcc_lo, s0, vcc_lo
	v_add_co_ci_u32_e32 v4, vcc_lo, 0, v4, vcc_lo
	s_or_b32 vcc_lo, s2, s1
	v_add_co_ci_u32_e32 v14, vcc_lo, 0, v14, vcc_lo
	v_cmp_gt_i32_e32 vcc_lo, 31, v16
	v_cndmask_b32_e32 v4, 0x7c00, v4, vcc_lo
	v_cmp_gt_i32_e32 vcc_lo, 31, v15
	v_cndmask_b32_e32 v14, 0x7c00, v14, vcc_lo
	v_cmp_eq_u32_e32 vcc_lo, 0x40f, v16
	v_cndmask_b32_e32 v4, v4, v6, vcc_lo
	v_cmp_eq_u32_e32 vcc_lo, 0x40f, v15
	v_and_or_b32 v4, 0x8000, v7, v4
	v_cndmask_b32_e32 v10, v14, v10, vcc_lo
	v_lshlrev_b64 v[6:7], 2, v[12:13]
	v_and_b32_e32 v4, 0xffff, v4
	v_and_or_b32 v10, 0x8000, v11, v10
	v_add_co_u32 v6, vcc_lo, v2, v6
	v_add_co_ci_u32_e32 v7, vcc_lo, v3, v7, vcc_lo
	v_lshl_or_b32 v4, v10, 16, v4
	global_store_dword v[6:7], v4, off
	global_load_dword v4, v[8:9], off offset:292
	v_lshrrev_b32_e32 v6, 16, v5
	s_waitcnt vmcnt(0)
	v_mul_f16_sdwa v7, v6, v4 dst_sel:DWORD dst_unused:UNUSED_PAD src0_sel:DWORD src1_sel:WORD_1
	v_mul_f16_sdwa v10, v5, v4 dst_sel:DWORD dst_unused:UNUSED_PAD src0_sel:DWORD src1_sel:WORD_1
	v_fmac_f16_e32 v7, v5, v4
	v_fma_f16 v4, v4, v6, -v10
	v_cvt_f32_f16_e32 v5, v7
	v_cvt_f32_f16_e32 v6, v4
	v_cvt_f64_f32_e32 v[4:5], v5
	v_cvt_f64_f32_e32 v[6:7], v6
	v_mul_f64 v[4:5], v[4:5], s[4:5]
	v_mul_f64 v[6:7], v[6:7], s[4:5]
	v_and_or_b32 v4, 0x1ff, v5, v4
	v_and_or_b32 v6, 0x1ff, v7, v6
	v_lshrrev_b32_e32 v10, 8, v5
	v_bfe_u32 v11, v5, 20, 11
	v_lshrrev_b32_e32 v12, 8, v7
	v_cmp_ne_u32_e32 vcc_lo, 0, v4
	v_bfe_u32 v13, v7, 20, 11
	v_lshrrev_b32_e32 v5, 16, v5
	v_sub_nc_u32_e32 v14, 0x3f1, v11
	v_add_nc_u32_e32 v11, 0xfffffc10, v11
	v_cndmask_b32_e64 v4, 0, 1, vcc_lo
	v_cmp_ne_u32_e32 vcc_lo, 0, v6
	v_lshrrev_b32_e32 v7, 16, v7
	v_and_or_b32 v4, 0xffe, v10, v4
	v_cndmask_b32_e64 v6, 0, 1, vcc_lo
	v_sub_nc_u32_e32 v10, 0x3f1, v13
	v_add_nc_u32_e32 v13, 0xfffffc10, v13
	v_and_or_b32 v6, 0xffe, v12, v6
	v_med3_i32 v12, v14, 0, 13
	v_or_b32_e32 v14, 0x1000, v4
	v_med3_i32 v10, v10, 0, 13
	v_or_b32_e32 v15, 0x1000, v6
	v_lshrrev_b32_e32 v16, v12, v14
	v_lshrrev_b32_e32 v17, v10, v15
	v_lshlrev_b32_e32 v12, v12, v16
	v_lshlrev_b32_e32 v10, v10, v17
	v_cmp_ne_u32_e32 vcc_lo, v12, v14
	v_lshl_or_b32 v14, v11, 12, v4
	v_cndmask_b32_e64 v12, 0, 1, vcc_lo
	v_cmp_ne_u32_e32 vcc_lo, v10, v15
	v_lshl_or_b32 v15, v13, 12, v6
	v_or_b32_e32 v12, v16, v12
	v_cndmask_b32_e64 v10, 0, 1, vcc_lo
	v_cmp_gt_i32_e32 vcc_lo, 1, v11
	v_or_b32_e32 v10, v17, v10
	v_cndmask_b32_e32 v12, v14, v12, vcc_lo
	v_cmp_gt_i32_e32 vcc_lo, 1, v13
	v_and_b32_e32 v14, 7, v12
	v_cndmask_b32_e32 v10, v15, v10, vcc_lo
	v_cmp_ne_u32_e32 vcc_lo, 0, v4
	v_lshrrev_b32_e32 v12, 2, v12
	v_cmp_eq_u32_e64 s0, 3, v14
	v_and_b32_e32 v15, 7, v10
	v_cndmask_b32_e64 v4, 0, 1, vcc_lo
	v_cmp_ne_u32_e32 vcc_lo, 0, v6
	v_lshrrev_b32_e32 v10, 2, v10
	v_cmp_lt_i32_e64 s1, 5, v15
	v_cmp_eq_u32_e64 s2, 3, v15
	v_cndmask_b32_e64 v6, 0, 1, vcc_lo
	v_cmp_lt_i32_e32 vcc_lo, 5, v14
	v_lshl_or_b32 v4, v4, 9, 0x7c00
	v_lshl_or_b32 v6, v6, 9, 0x7c00
	s_or_b32 vcc_lo, s0, vcc_lo
	v_add_co_ci_u32_e32 v12, vcc_lo, 0, v12, vcc_lo
	s_or_b32 vcc_lo, s2, s1
	v_add_co_ci_u32_e32 v10, vcc_lo, 0, v10, vcc_lo
	v_cmp_gt_i32_e32 vcc_lo, 31, v11
	v_cndmask_b32_e32 v12, 0x7c00, v12, vcc_lo
	v_cmp_gt_i32_e32 vcc_lo, 31, v13
	v_cndmask_b32_e32 v10, 0x7c00, v10, vcc_lo
	v_cmp_eq_u32_e32 vcc_lo, 0x40f, v11
	v_cndmask_b32_e32 v4, v12, v4, vcc_lo
	v_cmp_eq_u32_e32 vcc_lo, 0x40f, v13
	v_and_or_b32 v4, 0x8000, v5, v4
	v_cndmask_b32_e32 v6, v10, v6, vcc_lo
	v_add_co_u32 v0, vcc_lo, v0, s6
	v_add_co_ci_u32_e32 v1, vcc_lo, s3, v1, vcc_lo
	v_and_or_b32 v5, 0x8000, v7, v6
	v_and_b32_e32 v4, 0xffff, v4
	v_lshl_or_b32 v4, v5, 16, v4
	global_store_dword v[0:1], v4, off
	global_load_dword v6, v[8:9], off offset:352
	ds_read2_b32 v[4:5], v46 offset0:88 offset1:103
	s_waitcnt lgkmcnt(0)
	v_lshrrev_b32_e32 v7, 16, v4
	s_waitcnt vmcnt(0)
	v_mul_f16_sdwa v10, v7, v6 dst_sel:DWORD dst_unused:UNUSED_PAD src0_sel:DWORD src1_sel:WORD_1
	v_mul_f16_sdwa v11, v4, v6 dst_sel:DWORD dst_unused:UNUSED_PAD src0_sel:DWORD src1_sel:WORD_1
	v_fmac_f16_e32 v10, v4, v6
	v_fma_f16 v4, v6, v7, -v11
	v_cvt_f32_f16_e32 v6, v10
	v_cvt_f32_f16_e32 v4, v4
	v_cvt_f64_f32_e32 v[6:7], v6
	v_cvt_f64_f32_e32 v[10:11], v4
	v_mul_f64 v[6:7], v[6:7], s[4:5]
	v_mul_f64 v[10:11], v[10:11], s[4:5]
	v_and_or_b32 v4, 0x1ff, v7, v6
	v_and_or_b32 v10, 0x1ff, v11, v10
	v_lshrrev_b32_e32 v6, 8, v7
	v_bfe_u32 v14, v7, 20, 11
	v_lshrrev_b32_e32 v12, 8, v11
	v_cmp_ne_u32_e32 vcc_lo, 0, v4
	v_bfe_u32 v15, v11, 20, 11
	v_lshrrev_b32_e32 v7, 16, v7
	v_sub_nc_u32_e32 v13, 0x3f1, v14
	v_lshrrev_b32_e32 v11, 16, v11
	v_cndmask_b32_e64 v4, 0, 1, vcc_lo
	v_cmp_ne_u32_e32 vcc_lo, 0, v10
	v_sub_nc_u32_e32 v16, 0x3f1, v15
	v_add_nc_u32_e32 v15, 0xfffffc10, v15
	v_and_or_b32 v6, 0xffe, v6, v4
	v_cndmask_b32_e64 v10, 0, 1, vcc_lo
	v_med3_i32 v4, v13, 0, 13
	v_med3_i32 v16, v16, 0, 13
	v_or_b32_e32 v17, 0x1000, v6
	v_and_or_b32 v10, 0xffe, v12, v10
	v_mad_u64_u32 v[12:13], null, s8, v49, 0
	v_lshrrev_b32_e32 v19, v4, v17
	v_or_b32_e32 v18, 0x1000, v10
	v_lshlrev_b32_e32 v21, v4, v19
	v_lshrrev_b32_e32 v20, v16, v18
	v_mov_b32_e32 v4, v13
	v_cmp_ne_u32_e32 vcc_lo, v21, v17
	v_lshlrev_b32_e32 v13, v16, v20
	v_add_nc_u32_e32 v16, 0xfffffc10, v14
	v_cndmask_b32_e64 v17, 0, 1, vcc_lo
	v_cmp_ne_u32_e32 vcc_lo, v13, v18
	v_mad_u64_u32 v[13:14], null, s9, v49, v[4:5]
	v_lshl_or_b32 v4, v16, 12, v6
	v_or_b32_e32 v14, v19, v17
	v_cndmask_b32_e64 v18, 0, 1, vcc_lo
	v_cmp_gt_i32_e32 vcc_lo, 1, v16
	v_lshl_or_b32 v17, v15, 12, v10
	v_or_b32_e32 v18, v20, v18
	v_cndmask_b32_e32 v4, v4, v14, vcc_lo
	v_cmp_gt_i32_e32 vcc_lo, 1, v15
	v_cndmask_b32_e32 v14, v17, v18, vcc_lo
	v_cmp_ne_u32_e32 vcc_lo, 0, v6
	v_and_b32_e32 v17, 7, v4
	v_lshrrev_b32_e32 v4, 2, v4
	v_and_b32_e32 v18, 7, v14
	v_cndmask_b32_e64 v6, 0, 1, vcc_lo
	v_cmp_ne_u32_e32 vcc_lo, 0, v10
	v_cmp_eq_u32_e64 s0, 3, v17
	v_lshrrev_b32_e32 v14, 2, v14
	v_cmp_lt_i32_e64 s1, 5, v18
	v_cmp_eq_u32_e64 s2, 3, v18
	v_cndmask_b32_e64 v10, 0, 1, vcc_lo
	v_cmp_lt_i32_e32 vcc_lo, 5, v17
	v_lshl_or_b32 v6, v6, 9, 0x7c00
	v_lshl_or_b32 v10, v10, 9, 0x7c00
	s_or_b32 vcc_lo, s0, vcc_lo
	v_add_co_ci_u32_e32 v4, vcc_lo, 0, v4, vcc_lo
	s_or_b32 vcc_lo, s2, s1
	v_add_co_ci_u32_e32 v14, vcc_lo, 0, v14, vcc_lo
	v_cmp_gt_i32_e32 vcc_lo, 31, v16
	v_cndmask_b32_e32 v4, 0x7c00, v4, vcc_lo
	v_cmp_gt_i32_e32 vcc_lo, 31, v15
	v_cndmask_b32_e32 v14, 0x7c00, v14, vcc_lo
	v_cmp_eq_u32_e32 vcc_lo, 0x40f, v16
	v_cndmask_b32_e32 v4, v4, v6, vcc_lo
	v_cmp_eq_u32_e32 vcc_lo, 0x40f, v15
	v_and_or_b32 v4, 0x8000, v7, v4
	v_cndmask_b32_e32 v10, v14, v10, vcc_lo
	v_lshlrev_b64 v[6:7], 2, v[12:13]
	v_and_b32_e32 v4, 0xffff, v4
	v_and_or_b32 v10, 0x8000, v11, v10
	v_add_co_u32 v6, vcc_lo, v2, v6
	v_add_co_ci_u32_e32 v7, vcc_lo, v3, v7, vcc_lo
	v_lshl_or_b32 v4, v10, 16, v4
	global_store_dword v[6:7], v4, off
	global_load_dword v4, v[8:9], off offset:412
	v_lshrrev_b32_e32 v6, 16, v5
	s_waitcnt vmcnt(0)
	v_mul_f16_sdwa v7, v6, v4 dst_sel:DWORD dst_unused:UNUSED_PAD src0_sel:DWORD src1_sel:WORD_1
	v_mul_f16_sdwa v10, v5, v4 dst_sel:DWORD dst_unused:UNUSED_PAD src0_sel:DWORD src1_sel:WORD_1
	v_fmac_f16_e32 v7, v5, v4
	v_fma_f16 v4, v4, v6, -v10
	v_cvt_f32_f16_e32 v5, v7
	v_cvt_f32_f16_e32 v6, v4
	v_cvt_f64_f32_e32 v[4:5], v5
	v_cvt_f64_f32_e32 v[6:7], v6
	v_mul_f64 v[4:5], v[4:5], s[4:5]
	v_mul_f64 v[6:7], v[6:7], s[4:5]
	v_and_or_b32 v4, 0x1ff, v5, v4
	v_and_or_b32 v6, 0x1ff, v7, v6
	v_lshrrev_b32_e32 v10, 8, v5
	v_bfe_u32 v11, v5, 20, 11
	v_lshrrev_b32_e32 v12, 8, v7
	v_cmp_ne_u32_e32 vcc_lo, 0, v4
	v_bfe_u32 v13, v7, 20, 11
	v_lshrrev_b32_e32 v5, 16, v5
	v_sub_nc_u32_e32 v14, 0x3f1, v11
	v_add_nc_u32_e32 v11, 0xfffffc10, v11
	v_cndmask_b32_e64 v4, 0, 1, vcc_lo
	v_cmp_ne_u32_e32 vcc_lo, 0, v6
	v_lshrrev_b32_e32 v7, 16, v7
	v_and_or_b32 v4, 0xffe, v10, v4
	v_cndmask_b32_e64 v6, 0, 1, vcc_lo
	v_sub_nc_u32_e32 v10, 0x3f1, v13
	v_add_nc_u32_e32 v13, 0xfffffc10, v13
	v_and_or_b32 v6, 0xffe, v12, v6
	v_med3_i32 v12, v14, 0, 13
	v_or_b32_e32 v14, 0x1000, v4
	v_med3_i32 v10, v10, 0, 13
	v_or_b32_e32 v15, 0x1000, v6
	v_lshrrev_b32_e32 v16, v12, v14
	v_lshrrev_b32_e32 v17, v10, v15
	v_lshlrev_b32_e32 v12, v12, v16
	v_lshlrev_b32_e32 v10, v10, v17
	v_cmp_ne_u32_e32 vcc_lo, v12, v14
	v_lshl_or_b32 v14, v11, 12, v4
	v_cndmask_b32_e64 v12, 0, 1, vcc_lo
	v_cmp_ne_u32_e32 vcc_lo, v10, v15
	v_lshl_or_b32 v15, v13, 12, v6
	v_or_b32_e32 v12, v16, v12
	v_cndmask_b32_e64 v10, 0, 1, vcc_lo
	v_cmp_gt_i32_e32 vcc_lo, 1, v11
	v_or_b32_e32 v10, v17, v10
	v_cndmask_b32_e32 v12, v14, v12, vcc_lo
	v_cmp_gt_i32_e32 vcc_lo, 1, v13
	v_and_b32_e32 v14, 7, v12
	v_cndmask_b32_e32 v10, v15, v10, vcc_lo
	v_cmp_ne_u32_e32 vcc_lo, 0, v4
	v_lshrrev_b32_e32 v12, 2, v12
	v_cmp_eq_u32_e64 s0, 3, v14
	v_and_b32_e32 v15, 7, v10
	v_cndmask_b32_e64 v4, 0, 1, vcc_lo
	v_cmp_ne_u32_e32 vcc_lo, 0, v6
	v_lshrrev_b32_e32 v10, 2, v10
	v_cmp_lt_i32_e64 s1, 5, v15
	v_cmp_eq_u32_e64 s2, 3, v15
	v_cndmask_b32_e64 v6, 0, 1, vcc_lo
	v_cmp_lt_i32_e32 vcc_lo, 5, v14
	v_lshl_or_b32 v4, v4, 9, 0x7c00
	v_lshl_or_b32 v6, v6, 9, 0x7c00
	s_or_b32 vcc_lo, s0, vcc_lo
	v_add_co_ci_u32_e32 v12, vcc_lo, 0, v12, vcc_lo
	s_or_b32 vcc_lo, s2, s1
	v_add_co_ci_u32_e32 v10, vcc_lo, 0, v10, vcc_lo
	v_cmp_gt_i32_e32 vcc_lo, 31, v11
	v_cndmask_b32_e32 v12, 0x7c00, v12, vcc_lo
	v_cmp_gt_i32_e32 vcc_lo, 31, v13
	v_cndmask_b32_e32 v10, 0x7c00, v10, vcc_lo
	v_cmp_eq_u32_e32 vcc_lo, 0x40f, v11
	v_cndmask_b32_e32 v4, v12, v4, vcc_lo
	v_cmp_eq_u32_e32 vcc_lo, 0x40f, v13
	v_and_or_b32 v4, 0x8000, v5, v4
	v_cndmask_b32_e32 v6, v10, v6, vcc_lo
	v_add_co_u32 v0, vcc_lo, v0, s6
	v_add_co_ci_u32_e32 v1, vcc_lo, s3, v1, vcc_lo
	v_and_or_b32 v5, 0x8000, v7, v6
	v_and_b32_e32 v4, 0xffff, v4
	v_lshl_or_b32 v4, v5, 16, v4
	global_store_dword v[0:1], v4, off
	global_load_dword v6, v[8:9], off offset:472
	ds_read2_b32 v[4:5], v46 offset0:118 offset1:133
	s_waitcnt lgkmcnt(0)
	v_lshrrev_b32_e32 v7, 16, v4
	s_waitcnt vmcnt(0)
	v_mul_f16_sdwa v10, v7, v6 dst_sel:DWORD dst_unused:UNUSED_PAD src0_sel:DWORD src1_sel:WORD_1
	v_mul_f16_sdwa v11, v4, v6 dst_sel:DWORD dst_unused:UNUSED_PAD src0_sel:DWORD src1_sel:WORD_1
	v_fmac_f16_e32 v10, v4, v6
	v_fma_f16 v4, v6, v7, -v11
	v_cvt_f32_f16_e32 v6, v10
	v_cvt_f32_f16_e32 v4, v4
	v_cvt_f64_f32_e32 v[6:7], v6
	v_cvt_f64_f32_e32 v[10:11], v4
	v_mul_f64 v[6:7], v[6:7], s[4:5]
	v_mul_f64 v[10:11], v[10:11], s[4:5]
	v_and_or_b32 v4, 0x1ff, v7, v6
	v_and_or_b32 v10, 0x1ff, v11, v10
	v_lshrrev_b32_e32 v6, 8, v7
	v_bfe_u32 v14, v7, 20, 11
	v_lshrrev_b32_e32 v12, 8, v11
	v_cmp_ne_u32_e32 vcc_lo, 0, v4
	v_bfe_u32 v15, v11, 20, 11
	v_lshrrev_b32_e32 v7, 16, v7
	v_sub_nc_u32_e32 v13, 0x3f1, v14
	v_lshrrev_b32_e32 v11, 16, v11
	v_cndmask_b32_e64 v4, 0, 1, vcc_lo
	v_cmp_ne_u32_e32 vcc_lo, 0, v10
	v_sub_nc_u32_e32 v16, 0x3f1, v15
	v_add_nc_u32_e32 v15, 0xfffffc10, v15
	v_and_or_b32 v6, 0xffe, v6, v4
	v_cndmask_b32_e64 v10, 0, 1, vcc_lo
	v_med3_i32 v4, v13, 0, 13
	v_med3_i32 v16, v16, 0, 13
	v_or_b32_e32 v17, 0x1000, v6
	v_and_or_b32 v10, 0xffe, v12, v10
	v_mad_u64_u32 v[12:13], null, s8, v48, 0
	v_lshrrev_b32_e32 v19, v4, v17
	v_or_b32_e32 v18, 0x1000, v10
	v_lshlrev_b32_e32 v21, v4, v19
	v_lshrrev_b32_e32 v20, v16, v18
	v_mov_b32_e32 v4, v13
	v_cmp_ne_u32_e32 vcc_lo, v21, v17
	v_lshlrev_b32_e32 v13, v16, v20
	v_add_nc_u32_e32 v16, 0xfffffc10, v14
	v_cndmask_b32_e64 v17, 0, 1, vcc_lo
	v_cmp_ne_u32_e32 vcc_lo, v13, v18
	v_mad_u64_u32 v[13:14], null, s9, v48, v[4:5]
	v_lshl_or_b32 v4, v16, 12, v6
	v_or_b32_e32 v14, v19, v17
	v_cndmask_b32_e64 v18, 0, 1, vcc_lo
	v_cmp_gt_i32_e32 vcc_lo, 1, v16
	v_lshl_or_b32 v17, v15, 12, v10
	v_or_b32_e32 v18, v20, v18
	v_cndmask_b32_e32 v4, v4, v14, vcc_lo
	v_cmp_gt_i32_e32 vcc_lo, 1, v15
	v_cndmask_b32_e32 v14, v17, v18, vcc_lo
	v_cmp_ne_u32_e32 vcc_lo, 0, v6
	v_and_b32_e32 v17, 7, v4
	v_lshrrev_b32_e32 v4, 2, v4
	v_and_b32_e32 v18, 7, v14
	v_cndmask_b32_e64 v6, 0, 1, vcc_lo
	v_cmp_ne_u32_e32 vcc_lo, 0, v10
	v_cmp_eq_u32_e64 s0, 3, v17
	v_lshrrev_b32_e32 v14, 2, v14
	v_cmp_lt_i32_e64 s1, 5, v18
	v_cmp_eq_u32_e64 s2, 3, v18
	v_cndmask_b32_e64 v10, 0, 1, vcc_lo
	v_cmp_lt_i32_e32 vcc_lo, 5, v17
	v_lshl_or_b32 v6, v6, 9, 0x7c00
	v_lshl_or_b32 v10, v10, 9, 0x7c00
	s_or_b32 vcc_lo, s0, vcc_lo
	v_add_co_ci_u32_e32 v4, vcc_lo, 0, v4, vcc_lo
	s_or_b32 vcc_lo, s2, s1
	v_add_co_ci_u32_e32 v14, vcc_lo, 0, v14, vcc_lo
	v_cmp_gt_i32_e32 vcc_lo, 31, v16
	v_cndmask_b32_e32 v4, 0x7c00, v4, vcc_lo
	v_cmp_gt_i32_e32 vcc_lo, 31, v15
	v_cndmask_b32_e32 v14, 0x7c00, v14, vcc_lo
	v_cmp_eq_u32_e32 vcc_lo, 0x40f, v16
	v_cndmask_b32_e32 v4, v4, v6, vcc_lo
	v_cmp_eq_u32_e32 vcc_lo, 0x40f, v15
	v_and_or_b32 v4, 0x8000, v7, v4
	v_cndmask_b32_e32 v10, v14, v10, vcc_lo
	v_lshlrev_b64 v[6:7], 2, v[12:13]
	v_and_b32_e32 v4, 0xffff, v4
	v_and_or_b32 v10, 0x8000, v11, v10
	v_add_co_u32 v6, vcc_lo, v2, v6
	v_add_co_ci_u32_e32 v7, vcc_lo, v3, v7, vcc_lo
	v_lshl_or_b32 v4, v10, 16, v4
	global_store_dword v[6:7], v4, off
	global_load_dword v4, v[8:9], off offset:532
	v_lshrrev_b32_e32 v6, 16, v5
	s_waitcnt vmcnt(0)
	v_mul_f16_sdwa v7, v6, v4 dst_sel:DWORD dst_unused:UNUSED_PAD src0_sel:DWORD src1_sel:WORD_1
	v_mul_f16_sdwa v10, v5, v4 dst_sel:DWORD dst_unused:UNUSED_PAD src0_sel:DWORD src1_sel:WORD_1
	v_fmac_f16_e32 v7, v5, v4
	v_fma_f16 v4, v4, v6, -v10
	v_cvt_f32_f16_e32 v5, v7
	v_cvt_f32_f16_e32 v6, v4
	v_cvt_f64_f32_e32 v[4:5], v5
	v_cvt_f64_f32_e32 v[6:7], v6
	v_mul_f64 v[4:5], v[4:5], s[4:5]
	v_mul_f64 v[6:7], v[6:7], s[4:5]
	v_and_or_b32 v4, 0x1ff, v5, v4
	v_and_or_b32 v6, 0x1ff, v7, v6
	v_lshrrev_b32_e32 v10, 8, v5
	v_bfe_u32 v11, v5, 20, 11
	v_lshrrev_b32_e32 v12, 8, v7
	v_cmp_ne_u32_e32 vcc_lo, 0, v4
	v_bfe_u32 v13, v7, 20, 11
	v_lshrrev_b32_e32 v5, 16, v5
	v_sub_nc_u32_e32 v14, 0x3f1, v11
	v_add_nc_u32_e32 v11, 0xfffffc10, v11
	v_cndmask_b32_e64 v4, 0, 1, vcc_lo
	v_cmp_ne_u32_e32 vcc_lo, 0, v6
	v_lshrrev_b32_e32 v7, 16, v7
	v_and_or_b32 v4, 0xffe, v10, v4
	v_cndmask_b32_e64 v6, 0, 1, vcc_lo
	v_sub_nc_u32_e32 v10, 0x3f1, v13
	v_add_nc_u32_e32 v13, 0xfffffc10, v13
	v_and_or_b32 v6, 0xffe, v12, v6
	v_med3_i32 v12, v14, 0, 13
	v_or_b32_e32 v14, 0x1000, v4
	v_med3_i32 v10, v10, 0, 13
	v_or_b32_e32 v15, 0x1000, v6
	v_lshrrev_b32_e32 v16, v12, v14
	v_lshrrev_b32_e32 v17, v10, v15
	v_lshlrev_b32_e32 v12, v12, v16
	v_lshlrev_b32_e32 v10, v10, v17
	v_cmp_ne_u32_e32 vcc_lo, v12, v14
	v_lshl_or_b32 v14, v11, 12, v4
	v_cndmask_b32_e64 v12, 0, 1, vcc_lo
	v_cmp_ne_u32_e32 vcc_lo, v10, v15
	v_lshl_or_b32 v15, v13, 12, v6
	v_or_b32_e32 v12, v16, v12
	v_cndmask_b32_e64 v10, 0, 1, vcc_lo
	v_cmp_gt_i32_e32 vcc_lo, 1, v11
	v_or_b32_e32 v10, v17, v10
	v_cndmask_b32_e32 v12, v14, v12, vcc_lo
	v_cmp_gt_i32_e32 vcc_lo, 1, v13
	v_and_b32_e32 v14, 7, v12
	v_cndmask_b32_e32 v10, v15, v10, vcc_lo
	v_cmp_ne_u32_e32 vcc_lo, 0, v4
	v_lshrrev_b32_e32 v12, 2, v12
	v_cmp_eq_u32_e64 s0, 3, v14
	v_and_b32_e32 v15, 7, v10
	v_cndmask_b32_e64 v4, 0, 1, vcc_lo
	v_cmp_ne_u32_e32 vcc_lo, 0, v6
	v_lshrrev_b32_e32 v10, 2, v10
	v_cmp_lt_i32_e64 s1, 5, v15
	v_cmp_eq_u32_e64 s2, 3, v15
	v_cndmask_b32_e64 v6, 0, 1, vcc_lo
	v_cmp_lt_i32_e32 vcc_lo, 5, v14
	v_lshl_or_b32 v4, v4, 9, 0x7c00
	v_lshl_or_b32 v6, v6, 9, 0x7c00
	s_or_b32 vcc_lo, s0, vcc_lo
	v_add_co_ci_u32_e32 v12, vcc_lo, 0, v12, vcc_lo
	s_or_b32 vcc_lo, s2, s1
	v_add_co_ci_u32_e32 v10, vcc_lo, 0, v10, vcc_lo
	v_cmp_gt_i32_e32 vcc_lo, 31, v11
	v_cndmask_b32_e32 v12, 0x7c00, v12, vcc_lo
	v_cmp_gt_i32_e32 vcc_lo, 31, v13
	v_cndmask_b32_e32 v10, 0x7c00, v10, vcc_lo
	v_cmp_eq_u32_e32 vcc_lo, 0x40f, v11
	v_cndmask_b32_e32 v4, v12, v4, vcc_lo
	v_cmp_eq_u32_e32 vcc_lo, 0x40f, v13
	v_and_or_b32 v4, 0x8000, v5, v4
	v_cndmask_b32_e32 v6, v10, v6, vcc_lo
	v_add_co_u32 v0, vcc_lo, v0, s6
	v_add_co_ci_u32_e32 v1, vcc_lo, s3, v1, vcc_lo
	v_and_or_b32 v5, 0x8000, v7, v6
	v_and_b32_e32 v4, 0xffff, v4
	v_lshl_or_b32 v4, v5, 16, v4
	global_store_dword v[0:1], v4, off
	global_load_dword v6, v[8:9], off offset:592
	ds_read2_b32 v[4:5], v46 offset0:148 offset1:163
	s_waitcnt lgkmcnt(0)
	v_lshrrev_b32_e32 v7, 16, v4
	s_waitcnt vmcnt(0)
	v_mul_f16_sdwa v10, v7, v6 dst_sel:DWORD dst_unused:UNUSED_PAD src0_sel:DWORD src1_sel:WORD_1
	v_mul_f16_sdwa v11, v4, v6 dst_sel:DWORD dst_unused:UNUSED_PAD src0_sel:DWORD src1_sel:WORD_1
	v_fmac_f16_e32 v10, v4, v6
	v_fma_f16 v4, v6, v7, -v11
	v_cvt_f32_f16_e32 v6, v10
	v_cvt_f32_f16_e32 v4, v4
	v_cvt_f64_f32_e32 v[6:7], v6
	v_cvt_f64_f32_e32 v[10:11], v4
	v_mul_f64 v[6:7], v[6:7], s[4:5]
	v_mul_f64 v[10:11], v[10:11], s[4:5]
	v_and_or_b32 v4, 0x1ff, v7, v6
	v_and_or_b32 v10, 0x1ff, v11, v10
	v_lshrrev_b32_e32 v6, 8, v7
	v_bfe_u32 v14, v7, 20, 11
	v_lshrrev_b32_e32 v12, 8, v11
	v_cmp_ne_u32_e32 vcc_lo, 0, v4
	v_bfe_u32 v15, v11, 20, 11
	v_lshrrev_b32_e32 v7, 16, v7
	v_sub_nc_u32_e32 v13, 0x3f1, v14
	v_lshrrev_b32_e32 v11, 16, v11
	v_cndmask_b32_e64 v4, 0, 1, vcc_lo
	v_cmp_ne_u32_e32 vcc_lo, 0, v10
	v_sub_nc_u32_e32 v16, 0x3f1, v15
	v_add_nc_u32_e32 v15, 0xfffffc10, v15
	v_and_or_b32 v6, 0xffe, v6, v4
	v_cndmask_b32_e64 v10, 0, 1, vcc_lo
	v_med3_i32 v4, v13, 0, 13
	v_med3_i32 v16, v16, 0, 13
	v_or_b32_e32 v17, 0x1000, v6
	v_and_or_b32 v10, 0xffe, v12, v10
	v_mad_u64_u32 v[12:13], null, s8, v47, 0
	v_lshrrev_b32_e32 v19, v4, v17
	v_or_b32_e32 v18, 0x1000, v10
	v_lshlrev_b32_e32 v21, v4, v19
	v_lshrrev_b32_e32 v20, v16, v18
	v_mov_b32_e32 v4, v13
	v_cmp_ne_u32_e32 vcc_lo, v21, v17
	v_lshlrev_b32_e32 v13, v16, v20
	v_add_nc_u32_e32 v16, 0xfffffc10, v14
	v_cndmask_b32_e64 v17, 0, 1, vcc_lo
	v_cmp_ne_u32_e32 vcc_lo, v13, v18
	v_mad_u64_u32 v[13:14], null, s9, v47, v[4:5]
	v_lshl_or_b32 v4, v16, 12, v6
	v_or_b32_e32 v14, v19, v17
	v_cndmask_b32_e64 v18, 0, 1, vcc_lo
	v_cmp_gt_i32_e32 vcc_lo, 1, v16
	v_lshl_or_b32 v17, v15, 12, v10
	v_or_b32_e32 v18, v20, v18
	v_cndmask_b32_e32 v4, v4, v14, vcc_lo
	v_cmp_gt_i32_e32 vcc_lo, 1, v15
	v_cndmask_b32_e32 v14, v17, v18, vcc_lo
	v_cmp_ne_u32_e32 vcc_lo, 0, v6
	v_and_b32_e32 v17, 7, v4
	v_lshrrev_b32_e32 v4, 2, v4
	v_and_b32_e32 v18, 7, v14
	v_cndmask_b32_e64 v6, 0, 1, vcc_lo
	v_cmp_ne_u32_e32 vcc_lo, 0, v10
	v_cmp_eq_u32_e64 s0, 3, v17
	v_lshrrev_b32_e32 v14, 2, v14
	v_cmp_lt_i32_e64 s1, 5, v18
	v_cmp_eq_u32_e64 s2, 3, v18
	v_cndmask_b32_e64 v10, 0, 1, vcc_lo
	v_cmp_lt_i32_e32 vcc_lo, 5, v17
	v_lshl_or_b32 v6, v6, 9, 0x7c00
	v_lshl_or_b32 v10, v10, 9, 0x7c00
	s_or_b32 vcc_lo, s0, vcc_lo
	v_add_co_ci_u32_e32 v4, vcc_lo, 0, v4, vcc_lo
	s_or_b32 vcc_lo, s2, s1
	v_add_co_ci_u32_e32 v14, vcc_lo, 0, v14, vcc_lo
	v_cmp_gt_i32_e32 vcc_lo, 31, v16
	v_cndmask_b32_e32 v4, 0x7c00, v4, vcc_lo
	v_cmp_gt_i32_e32 vcc_lo, 31, v15
	v_cndmask_b32_e32 v14, 0x7c00, v14, vcc_lo
	v_cmp_eq_u32_e32 vcc_lo, 0x40f, v16
	v_cndmask_b32_e32 v4, v4, v6, vcc_lo
	v_cmp_eq_u32_e32 vcc_lo, 0x40f, v15
	v_and_or_b32 v4, 0x8000, v7, v4
	v_cndmask_b32_e32 v10, v14, v10, vcc_lo
	v_lshlrev_b64 v[6:7], 2, v[12:13]
	v_and_b32_e32 v4, 0xffff, v4
	v_and_or_b32 v10, 0x8000, v11, v10
	v_add_co_u32 v6, vcc_lo, v2, v6
	v_add_co_ci_u32_e32 v7, vcc_lo, v3, v7, vcc_lo
	v_lshl_or_b32 v4, v10, 16, v4
	global_store_dword v[6:7], v4, off
	global_load_dword v4, v[8:9], off offset:652
	v_lshrrev_b32_e32 v6, 16, v5
	s_waitcnt vmcnt(0)
	v_mul_f16_sdwa v7, v6, v4 dst_sel:DWORD dst_unused:UNUSED_PAD src0_sel:DWORD src1_sel:WORD_1
	v_mul_f16_sdwa v10, v5, v4 dst_sel:DWORD dst_unused:UNUSED_PAD src0_sel:DWORD src1_sel:WORD_1
	v_fmac_f16_e32 v7, v5, v4
	v_fma_f16 v4, v4, v6, -v10
	v_cvt_f32_f16_e32 v5, v7
	v_cvt_f32_f16_e32 v6, v4
	v_cvt_f64_f32_e32 v[4:5], v5
	v_cvt_f64_f32_e32 v[6:7], v6
	v_mul_f64 v[4:5], v[4:5], s[4:5]
	v_mul_f64 v[6:7], v[6:7], s[4:5]
	v_and_or_b32 v4, 0x1ff, v5, v4
	v_and_or_b32 v6, 0x1ff, v7, v6
	v_lshrrev_b32_e32 v10, 8, v5
	v_bfe_u32 v11, v5, 20, 11
	v_lshrrev_b32_e32 v12, 8, v7
	v_cmp_ne_u32_e32 vcc_lo, 0, v4
	v_bfe_u32 v13, v7, 20, 11
	v_lshrrev_b32_e32 v5, 16, v5
	v_sub_nc_u32_e32 v14, 0x3f1, v11
	v_add_nc_u32_e32 v11, 0xfffffc10, v11
	v_cndmask_b32_e64 v4, 0, 1, vcc_lo
	v_cmp_ne_u32_e32 vcc_lo, 0, v6
	v_lshrrev_b32_e32 v7, 16, v7
	v_and_or_b32 v4, 0xffe, v10, v4
	v_cndmask_b32_e64 v6, 0, 1, vcc_lo
	v_sub_nc_u32_e32 v10, 0x3f1, v13
	v_add_nc_u32_e32 v13, 0xfffffc10, v13
	v_and_or_b32 v6, 0xffe, v12, v6
	v_med3_i32 v12, v14, 0, 13
	v_or_b32_e32 v14, 0x1000, v4
	v_med3_i32 v10, v10, 0, 13
	v_or_b32_e32 v15, 0x1000, v6
	v_lshrrev_b32_e32 v16, v12, v14
	v_lshrrev_b32_e32 v17, v10, v15
	v_lshlrev_b32_e32 v12, v12, v16
	v_lshlrev_b32_e32 v10, v10, v17
	v_cmp_ne_u32_e32 vcc_lo, v12, v14
	v_lshl_or_b32 v14, v11, 12, v4
	v_cndmask_b32_e64 v12, 0, 1, vcc_lo
	v_cmp_ne_u32_e32 vcc_lo, v10, v15
	v_lshl_or_b32 v15, v13, 12, v6
	v_or_b32_e32 v12, v16, v12
	v_cndmask_b32_e64 v10, 0, 1, vcc_lo
	v_cmp_gt_i32_e32 vcc_lo, 1, v11
	v_or_b32_e32 v10, v17, v10
	v_cndmask_b32_e32 v12, v14, v12, vcc_lo
	v_cmp_gt_i32_e32 vcc_lo, 1, v13
	v_and_b32_e32 v14, 7, v12
	v_cndmask_b32_e32 v10, v15, v10, vcc_lo
	v_cmp_ne_u32_e32 vcc_lo, 0, v4
	v_lshrrev_b32_e32 v12, 2, v12
	v_cmp_eq_u32_e64 s0, 3, v14
	v_and_b32_e32 v15, 7, v10
	v_cndmask_b32_e64 v4, 0, 1, vcc_lo
	v_cmp_ne_u32_e32 vcc_lo, 0, v6
	v_lshrrev_b32_e32 v10, 2, v10
	v_cmp_lt_i32_e64 s1, 5, v15
	v_cmp_eq_u32_e64 s2, 3, v15
	v_cndmask_b32_e64 v6, 0, 1, vcc_lo
	v_cmp_lt_i32_e32 vcc_lo, 5, v14
	v_lshl_or_b32 v4, v4, 9, 0x7c00
	v_lshl_or_b32 v6, v6, 9, 0x7c00
	s_or_b32 vcc_lo, s0, vcc_lo
	v_add_co_ci_u32_e32 v12, vcc_lo, 0, v12, vcc_lo
	s_or_b32 vcc_lo, s2, s1
	v_add_co_ci_u32_e32 v10, vcc_lo, 0, v10, vcc_lo
	v_cmp_gt_i32_e32 vcc_lo, 31, v11
	v_cndmask_b32_e32 v12, 0x7c00, v12, vcc_lo
	v_cmp_gt_i32_e32 vcc_lo, 31, v13
	v_cndmask_b32_e32 v10, 0x7c00, v10, vcc_lo
	v_cmp_eq_u32_e32 vcc_lo, 0x40f, v11
	v_cndmask_b32_e32 v4, v12, v4, vcc_lo
	v_cmp_eq_u32_e32 vcc_lo, 0x40f, v13
	v_and_or_b32 v4, 0x8000, v5, v4
	v_cndmask_b32_e32 v6, v10, v6, vcc_lo
	v_add_co_u32 v0, vcc_lo, v0, s6
	v_add_co_ci_u32_e32 v1, vcc_lo, s3, v1, vcc_lo
	v_and_or_b32 v5, 0x8000, v7, v6
	v_and_b32_e32 v4, 0xffff, v4
	v_lshl_or_b32 v4, v5, 16, v4
	global_store_dword v[0:1], v4, off
	global_load_dword v6, v[8:9], off offset:712
	ds_read2_b32 v[4:5], v46 offset0:178 offset1:193
	s_waitcnt lgkmcnt(0)
	v_lshrrev_b32_e32 v7, 16, v4
	s_waitcnt vmcnt(0)
	v_mul_f16_sdwa v10, v7, v6 dst_sel:DWORD dst_unused:UNUSED_PAD src0_sel:DWORD src1_sel:WORD_1
	v_mul_f16_sdwa v11, v4, v6 dst_sel:DWORD dst_unused:UNUSED_PAD src0_sel:DWORD src1_sel:WORD_1
	v_fmac_f16_e32 v10, v4, v6
	v_fma_f16 v4, v6, v7, -v11
	v_cvt_f32_f16_e32 v6, v10
	v_cvt_f32_f16_e32 v4, v4
	v_cvt_f64_f32_e32 v[6:7], v6
	v_cvt_f64_f32_e32 v[10:11], v4
	v_mul_f64 v[6:7], v[6:7], s[4:5]
	v_mul_f64 v[10:11], v[10:11], s[4:5]
	v_and_or_b32 v4, 0x1ff, v7, v6
	v_and_or_b32 v10, 0x1ff, v11, v10
	v_lshrrev_b32_e32 v6, 8, v7
	v_bfe_u32 v14, v7, 20, 11
	v_lshrrev_b32_e32 v12, 8, v11
	v_cmp_ne_u32_e32 vcc_lo, 0, v4
	v_bfe_u32 v15, v11, 20, 11
	v_lshrrev_b32_e32 v7, 16, v7
	v_sub_nc_u32_e32 v13, 0x3f1, v14
	v_lshrrev_b32_e32 v11, 16, v11
	v_cndmask_b32_e64 v4, 0, 1, vcc_lo
	v_cmp_ne_u32_e32 vcc_lo, 0, v10
	v_sub_nc_u32_e32 v16, 0x3f1, v15
	v_add_nc_u32_e32 v15, 0xfffffc10, v15
	v_and_or_b32 v6, 0xffe, v6, v4
	v_cndmask_b32_e64 v10, 0, 1, vcc_lo
	v_med3_i32 v4, v13, 0, 13
	v_med3_i32 v16, v16, 0, 13
	v_or_b32_e32 v17, 0x1000, v6
	v_and_or_b32 v10, 0xffe, v12, v10
	v_mad_u64_u32 v[12:13], null, s8, v45, 0
	v_lshrrev_b32_e32 v19, v4, v17
	v_or_b32_e32 v18, 0x1000, v10
	v_lshlrev_b32_e32 v21, v4, v19
	v_lshrrev_b32_e32 v20, v16, v18
	v_mov_b32_e32 v4, v13
	v_cmp_ne_u32_e32 vcc_lo, v21, v17
	v_lshlrev_b32_e32 v13, v16, v20
	v_add_nc_u32_e32 v16, 0xfffffc10, v14
	v_cndmask_b32_e64 v17, 0, 1, vcc_lo
	v_cmp_ne_u32_e32 vcc_lo, v13, v18
	v_mad_u64_u32 v[13:14], null, s9, v45, v[4:5]
	v_lshl_or_b32 v4, v16, 12, v6
	v_or_b32_e32 v14, v19, v17
	v_cndmask_b32_e64 v18, 0, 1, vcc_lo
	v_cmp_gt_i32_e32 vcc_lo, 1, v16
	v_lshl_or_b32 v17, v15, 12, v10
	v_or_b32_e32 v18, v20, v18
	v_cndmask_b32_e32 v4, v4, v14, vcc_lo
	v_cmp_gt_i32_e32 vcc_lo, 1, v15
	v_cndmask_b32_e32 v14, v17, v18, vcc_lo
	v_cmp_ne_u32_e32 vcc_lo, 0, v6
	v_and_b32_e32 v17, 7, v4
	v_lshrrev_b32_e32 v4, 2, v4
	v_and_b32_e32 v18, 7, v14
	v_cndmask_b32_e64 v6, 0, 1, vcc_lo
	v_cmp_ne_u32_e32 vcc_lo, 0, v10
	v_cmp_eq_u32_e64 s0, 3, v17
	v_lshrrev_b32_e32 v14, 2, v14
	v_cmp_lt_i32_e64 s1, 5, v18
	v_cmp_eq_u32_e64 s2, 3, v18
	v_cndmask_b32_e64 v10, 0, 1, vcc_lo
	v_cmp_lt_i32_e32 vcc_lo, 5, v17
	v_lshl_or_b32 v6, v6, 9, 0x7c00
	v_lshl_or_b32 v10, v10, 9, 0x7c00
	s_or_b32 vcc_lo, s0, vcc_lo
	v_add_co_ci_u32_e32 v4, vcc_lo, 0, v4, vcc_lo
	s_or_b32 vcc_lo, s2, s1
	v_add_co_ci_u32_e32 v14, vcc_lo, 0, v14, vcc_lo
	v_cmp_gt_i32_e32 vcc_lo, 31, v16
	v_cndmask_b32_e32 v4, 0x7c00, v4, vcc_lo
	v_cmp_gt_i32_e32 vcc_lo, 31, v15
	v_cndmask_b32_e32 v14, 0x7c00, v14, vcc_lo
	v_cmp_eq_u32_e32 vcc_lo, 0x40f, v16
	v_cndmask_b32_e32 v4, v4, v6, vcc_lo
	v_cmp_eq_u32_e32 vcc_lo, 0x40f, v15
	v_and_or_b32 v4, 0x8000, v7, v4
	v_cndmask_b32_e32 v10, v14, v10, vcc_lo
	v_lshlrev_b64 v[6:7], 2, v[12:13]
	v_and_b32_e32 v4, 0xffff, v4
	v_and_or_b32 v10, 0x8000, v11, v10
	v_add_co_u32 v2, vcc_lo, v2, v6
	v_add_co_ci_u32_e32 v3, vcc_lo, v3, v7, vcc_lo
	v_lshl_or_b32 v4, v10, 16, v4
	global_store_dword v[2:3], v4, off
	global_load_dword v2, v[8:9], off offset:772
	v_lshrrev_b32_e32 v3, 16, v5
	s_waitcnt vmcnt(0)
	v_mul_f16_sdwa v4, v3, v2 dst_sel:DWORD dst_unused:UNUSED_PAD src0_sel:DWORD src1_sel:WORD_1
	v_mul_f16_sdwa v6, v5, v2 dst_sel:DWORD dst_unused:UNUSED_PAD src0_sel:DWORD src1_sel:WORD_1
	v_fmac_f16_e32 v4, v5, v2
	v_fma_f16 v2, v2, v3, -v6
	v_cvt_f32_f16_e32 v3, v4
	v_cvt_f32_f16_e32 v4, v2
	v_cvt_f64_f32_e32 v[2:3], v3
	v_cvt_f64_f32_e32 v[4:5], v4
	v_mul_f64 v[2:3], v[2:3], s[4:5]
	v_mul_f64 v[4:5], v[4:5], s[4:5]
	v_and_or_b32 v2, 0x1ff, v3, v2
	v_and_or_b32 v4, 0x1ff, v5, v4
	v_lshrrev_b32_e32 v6, 8, v3
	v_bfe_u32 v7, v3, 20, 11
	v_lshrrev_b32_e32 v8, 8, v5
	v_cmp_ne_u32_e32 vcc_lo, 0, v2
	v_bfe_u32 v9, v5, 20, 11
	v_lshrrev_b32_e32 v3, 16, v3
	v_sub_nc_u32_e32 v10, 0x3f1, v7
	v_add_nc_u32_e32 v7, 0xfffffc10, v7
	v_cndmask_b32_e64 v2, 0, 1, vcc_lo
	v_cmp_ne_u32_e32 vcc_lo, 0, v4
	v_lshrrev_b32_e32 v5, 16, v5
	v_and_or_b32 v2, 0xffe, v6, v2
	v_cndmask_b32_e64 v4, 0, 1, vcc_lo
	v_sub_nc_u32_e32 v6, 0x3f1, v9
	v_add_nc_u32_e32 v9, 0xfffffc10, v9
	v_and_or_b32 v4, 0xffe, v8, v4
	v_med3_i32 v8, v10, 0, 13
	v_or_b32_e32 v10, 0x1000, v2
	v_med3_i32 v6, v6, 0, 13
	v_or_b32_e32 v11, 0x1000, v4
	v_lshrrev_b32_e32 v12, v8, v10
	v_lshrrev_b32_e32 v13, v6, v11
	v_lshlrev_b32_e32 v8, v8, v12
	v_lshlrev_b32_e32 v6, v6, v13
	v_cmp_ne_u32_e32 vcc_lo, v8, v10
	v_lshl_or_b32 v10, v7, 12, v2
	v_cndmask_b32_e64 v8, 0, 1, vcc_lo
	v_cmp_ne_u32_e32 vcc_lo, v6, v11
	v_lshl_or_b32 v11, v9, 12, v4
	v_or_b32_e32 v8, v12, v8
	v_cndmask_b32_e64 v6, 0, 1, vcc_lo
	v_cmp_gt_i32_e32 vcc_lo, 1, v7
	v_or_b32_e32 v6, v13, v6
	v_cndmask_b32_e32 v8, v10, v8, vcc_lo
	v_cmp_gt_i32_e32 vcc_lo, 1, v9
	v_and_b32_e32 v10, 7, v8
	v_cndmask_b32_e32 v6, v11, v6, vcc_lo
	v_cmp_ne_u32_e32 vcc_lo, 0, v2
	v_lshrrev_b32_e32 v8, 2, v8
	v_cmp_eq_u32_e64 s0, 3, v10
	v_and_b32_e32 v11, 7, v6
	v_cndmask_b32_e64 v2, 0, 1, vcc_lo
	v_cmp_ne_u32_e32 vcc_lo, 0, v4
	v_lshrrev_b32_e32 v6, 2, v6
	v_cmp_lt_i32_e64 s1, 5, v11
	v_cmp_eq_u32_e64 s2, 3, v11
	v_cndmask_b32_e64 v4, 0, 1, vcc_lo
	v_cmp_lt_i32_e32 vcc_lo, 5, v10
	v_lshl_or_b32 v2, v2, 9, 0x7c00
	v_lshl_or_b32 v4, v4, 9, 0x7c00
	s_or_b32 vcc_lo, s0, vcc_lo
	v_add_co_ci_u32_e32 v8, vcc_lo, 0, v8, vcc_lo
	s_or_b32 vcc_lo, s2, s1
	v_add_co_ci_u32_e32 v6, vcc_lo, 0, v6, vcc_lo
	v_cmp_gt_i32_e32 vcc_lo, 31, v7
	v_cndmask_b32_e32 v8, 0x7c00, v8, vcc_lo
	v_cmp_gt_i32_e32 vcc_lo, 31, v9
	v_cndmask_b32_e32 v6, 0x7c00, v6, vcc_lo
	v_cmp_eq_u32_e32 vcc_lo, 0x40f, v7
	v_cndmask_b32_e32 v2, v8, v2, vcc_lo
	v_cmp_eq_u32_e32 vcc_lo, 0x40f, v9
	v_and_or_b32 v2, 0x8000, v3, v2
	v_cndmask_b32_e32 v4, v6, v4, vcc_lo
	v_add_co_u32 v0, vcc_lo, v0, s6
	v_add_co_ci_u32_e32 v1, vcc_lo, s3, v1, vcc_lo
	v_and_or_b32 v3, 0x8000, v5, v4
	v_and_b32_e32 v2, 0xffff, v2
	v_lshl_or_b32 v2, v3, 16, v2
	global_store_dword v[0:1], v2, off
.LBB0_15:
	s_endpgm
	.section	.rodata,"a",@progbits
	.p2align	6, 0x0
	.amdhsa_kernel bluestein_single_fwd_len195_dim1_half_op_CI_CI
		.amdhsa_group_segment_fixed_size 3120
		.amdhsa_private_segment_fixed_size 0
		.amdhsa_kernarg_size 104
		.amdhsa_user_sgpr_count 6
		.amdhsa_user_sgpr_private_segment_buffer 1
		.amdhsa_user_sgpr_dispatch_ptr 0
		.amdhsa_user_sgpr_queue_ptr 0
		.amdhsa_user_sgpr_kernarg_segment_ptr 1
		.amdhsa_user_sgpr_dispatch_id 0
		.amdhsa_user_sgpr_flat_scratch_init 0
		.amdhsa_user_sgpr_private_segment_size 0
		.amdhsa_wavefront_size32 1
		.amdhsa_uses_dynamic_stack 0
		.amdhsa_system_sgpr_private_segment_wavefront_offset 0
		.amdhsa_system_sgpr_workgroup_id_x 1
		.amdhsa_system_sgpr_workgroup_id_y 0
		.amdhsa_system_sgpr_workgroup_id_z 0
		.amdhsa_system_sgpr_workgroup_info 0
		.amdhsa_system_vgpr_workitem_id 0
		.amdhsa_next_free_vgpr 170
		.amdhsa_next_free_sgpr 18
		.amdhsa_reserve_vcc 1
		.amdhsa_reserve_flat_scratch 0
		.amdhsa_float_round_mode_32 0
		.amdhsa_float_round_mode_16_64 0
		.amdhsa_float_denorm_mode_32 3
		.amdhsa_float_denorm_mode_16_64 3
		.amdhsa_dx10_clamp 1
		.amdhsa_ieee_mode 1
		.amdhsa_fp16_overflow 0
		.amdhsa_workgroup_processor_mode 1
		.amdhsa_memory_ordered 1
		.amdhsa_forward_progress 0
		.amdhsa_shared_vgpr_count 0
		.amdhsa_exception_fp_ieee_invalid_op 0
		.amdhsa_exception_fp_denorm_src 0
		.amdhsa_exception_fp_ieee_div_zero 0
		.amdhsa_exception_fp_ieee_overflow 0
		.amdhsa_exception_fp_ieee_underflow 0
		.amdhsa_exception_fp_ieee_inexact 0
		.amdhsa_exception_int_div_zero 0
	.end_amdhsa_kernel
	.text
.Lfunc_end0:
	.size	bluestein_single_fwd_len195_dim1_half_op_CI_CI, .Lfunc_end0-bluestein_single_fwd_len195_dim1_half_op_CI_CI
                                        ; -- End function
	.section	.AMDGPU.csdata,"",@progbits
; Kernel info:
; codeLenInByte = 38104
; NumSgprs: 20
; NumVgprs: 170
; ScratchSize: 0
; MemoryBound: 0
; FloatMode: 240
; IeeeMode: 1
; LDSByteSize: 3120 bytes/workgroup (compile time only)
; SGPRBlocks: 2
; VGPRBlocks: 21
; NumSGPRsForWavesPerEU: 20
; NumVGPRsForWavesPerEU: 170
; Occupancy: 5
; WaveLimiterHint : 1
; COMPUTE_PGM_RSRC2:SCRATCH_EN: 0
; COMPUTE_PGM_RSRC2:USER_SGPR: 6
; COMPUTE_PGM_RSRC2:TRAP_HANDLER: 0
; COMPUTE_PGM_RSRC2:TGID_X_EN: 1
; COMPUTE_PGM_RSRC2:TGID_Y_EN: 0
; COMPUTE_PGM_RSRC2:TGID_Z_EN: 0
; COMPUTE_PGM_RSRC2:TIDIG_COMP_CNT: 0
	.text
	.p2alignl 6, 3214868480
	.fill 48, 4, 3214868480
	.type	__hip_cuid_4eecf0765046db85,@object ; @__hip_cuid_4eecf0765046db85
	.section	.bss,"aw",@nobits
	.globl	__hip_cuid_4eecf0765046db85
__hip_cuid_4eecf0765046db85:
	.byte	0                               ; 0x0
	.size	__hip_cuid_4eecf0765046db85, 1

	.ident	"AMD clang version 19.0.0git (https://github.com/RadeonOpenCompute/llvm-project roc-6.4.0 25133 c7fe45cf4b819c5991fe208aaa96edf142730f1d)"
	.section	".note.GNU-stack","",@progbits
	.addrsig
	.addrsig_sym __hip_cuid_4eecf0765046db85
	.amdgpu_metadata
---
amdhsa.kernels:
  - .args:
      - .actual_access:  read_only
        .address_space:  global
        .offset:         0
        .size:           8
        .value_kind:     global_buffer
      - .actual_access:  read_only
        .address_space:  global
        .offset:         8
        .size:           8
        .value_kind:     global_buffer
      - .actual_access:  read_only
        .address_space:  global
        .offset:         16
        .size:           8
        .value_kind:     global_buffer
      - .actual_access:  read_only
        .address_space:  global
        .offset:         24
        .size:           8
        .value_kind:     global_buffer
      - .actual_access:  read_only
        .address_space:  global
        .offset:         32
        .size:           8
        .value_kind:     global_buffer
      - .offset:         40
        .size:           8
        .value_kind:     by_value
      - .address_space:  global
        .offset:         48
        .size:           8
        .value_kind:     global_buffer
      - .address_space:  global
        .offset:         56
        .size:           8
        .value_kind:     global_buffer
      - .address_space:  global
        .offset:         64
        .size:           8
        .value_kind:     global_buffer
      - .address_space:  global
        .offset:         72
        .size:           8
        .value_kind:     global_buffer
      - .offset:         80
        .size:           4
        .value_kind:     by_value
      - .address_space:  global
        .offset:         88
        .size:           8
        .value_kind:     global_buffer
      - .address_space:  global
        .offset:         96
        .size:           8
        .value_kind:     global_buffer
    .group_segment_fixed_size: 3120
    .kernarg_segment_align: 8
    .kernarg_segment_size: 104
    .language:       OpenCL C
    .language_version:
      - 2
      - 0
    .max_flat_workgroup_size: 52
    .name:           bluestein_single_fwd_len195_dim1_half_op_CI_CI
    .private_segment_fixed_size: 0
    .sgpr_count:     20
    .sgpr_spill_count: 0
    .symbol:         bluestein_single_fwd_len195_dim1_half_op_CI_CI.kd
    .uniform_work_group_size: 1
    .uses_dynamic_stack: false
    .vgpr_count:     170
    .vgpr_spill_count: 0
    .wavefront_size: 32
    .workgroup_processor_mode: 1
amdhsa.target:   amdgcn-amd-amdhsa--gfx1030
amdhsa.version:
  - 1
  - 2
...

	.end_amdgpu_metadata
